;; amdgpu-corpus repo=ROCm/rocFFT kind=compiled arch=gfx1201 opt=O3
	.text
	.amdgcn_target "amdgcn-amd-amdhsa--gfx1201"
	.amdhsa_code_object_version 6
	.protected	fft_rtc_back_len510_factors_17_2_3_5_wgs_238_tpt_34_halfLds_half_ip_CI_sbrr_dirReg ; -- Begin function fft_rtc_back_len510_factors_17_2_3_5_wgs_238_tpt_34_halfLds_half_ip_CI_sbrr_dirReg
	.globl	fft_rtc_back_len510_factors_17_2_3_5_wgs_238_tpt_34_halfLds_half_ip_CI_sbrr_dirReg
	.p2align	8
	.type	fft_rtc_back_len510_factors_17_2_3_5_wgs_238_tpt_34_halfLds_half_ip_CI_sbrr_dirReg,@function
fft_rtc_back_len510_factors_17_2_3_5_wgs_238_tpt_34_halfLds_half_ip_CI_sbrr_dirReg: ; @fft_rtc_back_len510_factors_17_2_3_5_wgs_238_tpt_34_halfLds_half_ip_CI_sbrr_dirReg
; %bb.0:
	s_clause 0x1
	s_load_b64 s[12:13], s[0:1], 0x18
	s_load_b128 s[4:7], s[0:1], 0x0
	v_mul_u32_u24_e32 v1, 0x788, v0
	v_mov_b32_e32 v5, 0
	s_load_b64 s[10:11], s[0:1], 0x50
	s_wait_kmcnt 0x0
	s_load_b64 s[8:9], s[12:13], 0x0
	v_lshrrev_b32_e32 v1, 16, v1
	v_cmp_lt_u64_e64 s2, s[6:7], 2
	s_delay_alu instid0(VALU_DEP_2) | instskip(SKIP_4) | instid1(VALU_DEP_1)
	v_mad_co_u64_u32 v[1:2], null, ttmp9, 7, v[1:2]
	v_mov_b32_e32 v3, 0
	v_mov_b32_e32 v4, 0
	;; [unrolled: 1-line block ×3, first 2 shown]
	s_and_b32 vcc_lo, exec_lo, s2
	v_dual_mov_b32 v10, v2 :: v_dual_mov_b32 v9, v1
	s_cbranch_vccnz .LBB0_8
; %bb.1:
	s_load_b64 s[2:3], s[0:1], 0x10
	v_dual_mov_b32 v3, 0 :: v_dual_mov_b32 v8, v2
	v_dual_mov_b32 v4, 0 :: v_dual_mov_b32 v7, v1
	s_add_nc_u64 s[14:15], s[12:13], 8
	s_mov_b64 s[16:17], 1
	s_wait_kmcnt 0x0
	s_add_nc_u64 s[18:19], s[2:3], 8
	s_mov_b32 s3, 0
.LBB0_2:                                ; =>This Inner Loop Header: Depth=1
	s_load_b64 s[20:21], s[18:19], 0x0
                                        ; implicit-def: $vgpr9_vgpr10
	s_mov_b32 s2, exec_lo
	s_wait_kmcnt 0x0
	v_or_b32_e32 v6, s21, v8
	s_delay_alu instid0(VALU_DEP_1)
	v_cmpx_ne_u64_e32 0, v[5:6]
	s_wait_alu 0xfffe
	s_xor_b32 s22, exec_lo, s2
	s_cbranch_execz .LBB0_4
; %bb.3:                                ;   in Loop: Header=BB0_2 Depth=1
	s_cvt_f32_u32 s2, s20
	s_cvt_f32_u32 s23, s21
	s_sub_nc_u64 s[26:27], 0, s[20:21]
	s_wait_alu 0xfffe
	s_delay_alu instid0(SALU_CYCLE_1) | instskip(SKIP_1) | instid1(SALU_CYCLE_2)
	s_fmamk_f32 s2, s23, 0x4f800000, s2
	s_wait_alu 0xfffe
	v_s_rcp_f32 s2, s2
	s_delay_alu instid0(TRANS32_DEP_1) | instskip(SKIP_1) | instid1(SALU_CYCLE_2)
	s_mul_f32 s2, s2, 0x5f7ffffc
	s_wait_alu 0xfffe
	s_mul_f32 s23, s2, 0x2f800000
	s_wait_alu 0xfffe
	s_delay_alu instid0(SALU_CYCLE_2) | instskip(SKIP_1) | instid1(SALU_CYCLE_2)
	s_trunc_f32 s23, s23
	s_wait_alu 0xfffe
	s_fmamk_f32 s2, s23, 0xcf800000, s2
	s_cvt_u32_f32 s25, s23
	s_wait_alu 0xfffe
	s_delay_alu instid0(SALU_CYCLE_1) | instskip(SKIP_1) | instid1(SALU_CYCLE_2)
	s_cvt_u32_f32 s24, s2
	s_wait_alu 0xfffe
	s_mul_u64 s[28:29], s[26:27], s[24:25]
	s_wait_alu 0xfffe
	s_mul_hi_u32 s31, s24, s29
	s_mul_i32 s30, s24, s29
	s_mul_hi_u32 s2, s24, s28
	s_mul_i32 s33, s25, s28
	s_wait_alu 0xfffe
	s_add_nc_u64 s[30:31], s[2:3], s[30:31]
	s_mul_hi_u32 s23, s25, s28
	s_mul_hi_u32 s34, s25, s29
	s_add_co_u32 s2, s30, s33
	s_wait_alu 0xfffe
	s_add_co_ci_u32 s2, s31, s23
	s_mul_i32 s28, s25, s29
	s_add_co_ci_u32 s29, s34, 0
	s_wait_alu 0xfffe
	s_add_nc_u64 s[28:29], s[2:3], s[28:29]
	s_wait_alu 0xfffe
	v_add_co_u32 v2, s2, s24, s28
	s_delay_alu instid0(VALU_DEP_1) | instskip(SKIP_1) | instid1(VALU_DEP_1)
	s_cmp_lg_u32 s2, 0
	s_add_co_ci_u32 s25, s25, s29
	v_readfirstlane_b32 s24, v2
	s_wait_alu 0xfffe
	s_delay_alu instid0(VALU_DEP_1)
	s_mul_u64 s[26:27], s[26:27], s[24:25]
	s_wait_alu 0xfffe
	s_mul_hi_u32 s29, s24, s27
	s_mul_i32 s28, s24, s27
	s_mul_hi_u32 s2, s24, s26
	s_mul_i32 s30, s25, s26
	s_wait_alu 0xfffe
	s_add_nc_u64 s[28:29], s[2:3], s[28:29]
	s_mul_hi_u32 s23, s25, s26
	s_mul_hi_u32 s24, s25, s27
	s_wait_alu 0xfffe
	s_add_co_u32 s2, s28, s30
	s_add_co_ci_u32 s2, s29, s23
	s_mul_i32 s26, s25, s27
	s_add_co_ci_u32 s27, s24, 0
	s_wait_alu 0xfffe
	s_add_nc_u64 s[26:27], s[2:3], s[26:27]
	s_wait_alu 0xfffe
	v_add_co_u32 v2, s2, v2, s26
	s_delay_alu instid0(VALU_DEP_1) | instskip(SKIP_1) | instid1(VALU_DEP_1)
	s_cmp_lg_u32 s2, 0
	s_add_co_ci_u32 s2, s25, s27
	v_mul_hi_u32 v6, v7, v2
	s_wait_alu 0xfffe
	v_mad_co_u64_u32 v[9:10], null, v7, s2, 0
	v_mad_co_u64_u32 v[11:12], null, v8, v2, 0
	;; [unrolled: 1-line block ×3, first 2 shown]
	s_delay_alu instid0(VALU_DEP_3) | instskip(SKIP_1) | instid1(VALU_DEP_4)
	v_add_co_u32 v2, vcc_lo, v6, v9
	s_wait_alu 0xfffd
	v_add_co_ci_u32_e32 v6, vcc_lo, 0, v10, vcc_lo
	s_delay_alu instid0(VALU_DEP_2) | instskip(SKIP_1) | instid1(VALU_DEP_2)
	v_add_co_u32 v2, vcc_lo, v2, v11
	s_wait_alu 0xfffd
	v_add_co_ci_u32_e32 v2, vcc_lo, v6, v12, vcc_lo
	s_wait_alu 0xfffd
	v_add_co_ci_u32_e32 v6, vcc_lo, 0, v14, vcc_lo
	s_delay_alu instid0(VALU_DEP_2) | instskip(SKIP_1) | instid1(VALU_DEP_2)
	v_add_co_u32 v2, vcc_lo, v2, v13
	s_wait_alu 0xfffd
	v_add_co_ci_u32_e32 v6, vcc_lo, 0, v6, vcc_lo
	s_delay_alu instid0(VALU_DEP_2) | instskip(SKIP_1) | instid1(VALU_DEP_3)
	v_mul_lo_u32 v11, s21, v2
	v_mad_co_u64_u32 v[9:10], null, s20, v2, 0
	v_mul_lo_u32 v12, s20, v6
	s_delay_alu instid0(VALU_DEP_2) | instskip(NEXT) | instid1(VALU_DEP_2)
	v_sub_co_u32 v9, vcc_lo, v7, v9
	v_add3_u32 v10, v10, v12, v11
	s_delay_alu instid0(VALU_DEP_1) | instskip(SKIP_1) | instid1(VALU_DEP_1)
	v_sub_nc_u32_e32 v11, v8, v10
	s_wait_alu 0xfffd
	v_subrev_co_ci_u32_e64 v11, s2, s21, v11, vcc_lo
	v_add_co_u32 v12, s2, v2, 2
	s_wait_alu 0xf1ff
	v_add_co_ci_u32_e64 v13, s2, 0, v6, s2
	v_sub_co_u32 v14, s2, v9, s20
	v_sub_co_ci_u32_e32 v10, vcc_lo, v8, v10, vcc_lo
	s_wait_alu 0xf1ff
	v_subrev_co_ci_u32_e64 v11, s2, 0, v11, s2
	s_delay_alu instid0(VALU_DEP_3) | instskip(NEXT) | instid1(VALU_DEP_3)
	v_cmp_le_u32_e32 vcc_lo, s20, v14
	v_cmp_eq_u32_e64 s2, s21, v10
	s_wait_alu 0xfffd
	v_cndmask_b32_e64 v14, 0, -1, vcc_lo
	v_cmp_le_u32_e32 vcc_lo, s21, v11
	s_wait_alu 0xfffd
	v_cndmask_b32_e64 v15, 0, -1, vcc_lo
	v_cmp_le_u32_e32 vcc_lo, s20, v9
	;; [unrolled: 3-line block ×3, first 2 shown]
	s_wait_alu 0xfffd
	v_cndmask_b32_e64 v16, 0, -1, vcc_lo
	v_cmp_eq_u32_e32 vcc_lo, s21, v11
	s_wait_alu 0xf1ff
	s_delay_alu instid0(VALU_DEP_2)
	v_cndmask_b32_e64 v9, v16, v9, s2
	s_wait_alu 0xfffd
	v_cndmask_b32_e32 v11, v15, v14, vcc_lo
	v_add_co_u32 v14, vcc_lo, v2, 1
	s_wait_alu 0xfffd
	v_add_co_ci_u32_e32 v15, vcc_lo, 0, v6, vcc_lo
	s_delay_alu instid0(VALU_DEP_3) | instskip(SKIP_1) | instid1(VALU_DEP_2)
	v_cmp_ne_u32_e32 vcc_lo, 0, v11
	s_wait_alu 0xfffd
	v_dual_cndmask_b32 v10, v15, v13 :: v_dual_cndmask_b32 v11, v14, v12
	v_cmp_ne_u32_e32 vcc_lo, 0, v9
	s_wait_alu 0xfffd
	s_delay_alu instid0(VALU_DEP_2) | instskip(NEXT) | instid1(VALU_DEP_3)
	v_cndmask_b32_e32 v10, v6, v10, vcc_lo
	v_cndmask_b32_e32 v9, v2, v11, vcc_lo
.LBB0_4:                                ;   in Loop: Header=BB0_2 Depth=1
	s_wait_alu 0xfffe
	s_and_not1_saveexec_b32 s2, s22
	s_cbranch_execz .LBB0_6
; %bb.5:                                ;   in Loop: Header=BB0_2 Depth=1
	v_cvt_f32_u32_e32 v2, s20
	s_sub_co_i32 s22, 0, s20
	s_delay_alu instid0(VALU_DEP_1) | instskip(NEXT) | instid1(TRANS32_DEP_1)
	v_rcp_iflag_f32_e32 v2, v2
	v_mul_f32_e32 v2, 0x4f7ffffe, v2
	s_delay_alu instid0(VALU_DEP_1) | instskip(SKIP_1) | instid1(VALU_DEP_1)
	v_cvt_u32_f32_e32 v2, v2
	s_wait_alu 0xfffe
	v_mul_lo_u32 v6, s22, v2
	s_delay_alu instid0(VALU_DEP_1) | instskip(NEXT) | instid1(VALU_DEP_1)
	v_mul_hi_u32 v6, v2, v6
	v_add_nc_u32_e32 v2, v2, v6
	s_delay_alu instid0(VALU_DEP_1) | instskip(NEXT) | instid1(VALU_DEP_1)
	v_mul_hi_u32 v2, v7, v2
	v_mul_lo_u32 v6, v2, s20
	v_add_nc_u32_e32 v9, 1, v2
	s_delay_alu instid0(VALU_DEP_2) | instskip(NEXT) | instid1(VALU_DEP_1)
	v_sub_nc_u32_e32 v6, v7, v6
	v_subrev_nc_u32_e32 v10, s20, v6
	v_cmp_le_u32_e32 vcc_lo, s20, v6
	s_wait_alu 0xfffd
	s_delay_alu instid0(VALU_DEP_2) | instskip(SKIP_2) | instid1(VALU_DEP_3)
	v_cndmask_b32_e32 v6, v6, v10, vcc_lo
	v_mov_b32_e32 v10, v5
	v_cndmask_b32_e32 v2, v2, v9, vcc_lo
	v_cmp_le_u32_e32 vcc_lo, s20, v6
	s_delay_alu instid0(VALU_DEP_2) | instskip(SKIP_1) | instid1(VALU_DEP_1)
	v_add_nc_u32_e32 v9, 1, v2
	s_wait_alu 0xfffd
	v_cndmask_b32_e32 v9, v2, v9, vcc_lo
.LBB0_6:                                ;   in Loop: Header=BB0_2 Depth=1
	s_wait_alu 0xfffe
	s_or_b32 exec_lo, exec_lo, s2
	s_load_b64 s[22:23], s[14:15], 0x0
	v_mul_lo_u32 v2, v10, s20
	v_mul_lo_u32 v6, v9, s21
	v_mad_co_u64_u32 v[11:12], null, v9, s20, 0
	s_add_nc_u64 s[16:17], s[16:17], 1
	s_add_nc_u64 s[14:15], s[14:15], 8
	s_wait_alu 0xfffe
	v_cmp_ge_u64_e64 s2, s[16:17], s[6:7]
	s_add_nc_u64 s[18:19], s[18:19], 8
	s_delay_alu instid0(VALU_DEP_2) | instskip(NEXT) | instid1(VALU_DEP_3)
	v_add3_u32 v2, v12, v6, v2
	v_sub_co_u32 v6, vcc_lo, v7, v11
	s_wait_alu 0xfffd
	s_delay_alu instid0(VALU_DEP_2) | instskip(SKIP_3) | instid1(VALU_DEP_2)
	v_sub_co_ci_u32_e32 v2, vcc_lo, v8, v2, vcc_lo
	s_and_b32 vcc_lo, exec_lo, s2
	s_wait_kmcnt 0x0
	v_mul_lo_u32 v7, s23, v6
	v_mul_lo_u32 v2, s22, v2
	v_mad_co_u64_u32 v[3:4], null, s22, v6, v[3:4]
	s_delay_alu instid0(VALU_DEP_1)
	v_add3_u32 v4, v7, v4, v2
	s_wait_alu 0xfffe
	s_cbranch_vccnz .LBB0_8
; %bb.7:                                ;   in Loop: Header=BB0_2 Depth=1
	v_dual_mov_b32 v7, v9 :: v_dual_mov_b32 v8, v10
	s_branch .LBB0_2
.LBB0_8:
	s_lshl_b64 s[2:3], s[6:7], 3
	v_mul_hi_u32 v5, 0x7878788, v0
	s_wait_alu 0xfffe
	s_add_nc_u64 s[2:3], s[12:13], s[2:3]
                                        ; implicit-def: $vgpr46
                                        ; implicit-def: $vgpr34
                                        ; implicit-def: $vgpr45
                                        ; implicit-def: $vgpr35
                                        ; implicit-def: $vgpr44
                                        ; implicit-def: $vgpr29
                                        ; implicit-def: $vgpr43
                                        ; implicit-def: $vgpr27
                                        ; implicit-def: $vgpr42
                                        ; implicit-def: $vgpr12
                                        ; implicit-def: $vgpr41
                                        ; implicit-def: $vgpr40
                                        ; implicit-def: $vgpr39
                                        ; implicit-def: $vgpr47
                                        ; implicit-def: $vgpr38
                                        ; implicit-def: $vgpr48
                                        ; implicit-def: $vgpr37
                                        ; implicit-def: $vgpr49
                                        ; implicit-def: $vgpr36
                                        ; implicit-def: $vgpr50
                                        ; implicit-def: $vgpr33
                                        ; implicit-def: $vgpr51
                                        ; implicit-def: $vgpr32
                                        ; implicit-def: $vgpr52
                                        ; implicit-def: $vgpr31
                                        ; implicit-def: $vgpr53
                                        ; implicit-def: $vgpr30
                                        ; implicit-def: $vgpr54
                                        ; implicit-def: $vgpr28
                                        ; implicit-def: $vgpr55
	s_load_b64 s[2:3], s[2:3], 0x0
	s_load_b64 s[0:1], s[0:1], 0x20
	s_wait_kmcnt 0x0
	v_mul_lo_u32 v6, s2, v10
	v_mul_lo_u32 v7, s3, v9
	v_mad_co_u64_u32 v[2:3], null, s2, v9, v[3:4]
	v_mul_u32_u24_e32 v4, 34, v5
	v_cmp_gt_u64_e32 vcc_lo, s[0:1], v[9:10]
	s_delay_alu instid0(VALU_DEP_2) | instskip(NEXT) | instid1(VALU_DEP_4)
	v_sub_nc_u32_e32 v8, v0, v4
	v_add3_u32 v3, v7, v3, v6
	v_mov_b32_e32 v0, 0
	v_mov_b32_e32 v6, 0
	s_delay_alu instid0(VALU_DEP_4) | instskip(NEXT) | instid1(VALU_DEP_4)
	v_cmp_gt_u32_e64 s0, 30, v8
	v_lshlrev_b64_e32 v[4:5], 2, v[2:3]
                                        ; implicit-def: $vgpr3
                                        ; implicit-def: $vgpr2
	s_delay_alu instid0(VALU_DEP_2)
	s_and_b32 s1, vcc_lo, s0
	s_wait_alu 0xfffe
	s_and_saveexec_b32 s2, s1
	s_cbranch_execz .LBB0_10
; %bb.9:
	v_mad_co_u64_u32 v[2:3], null, s8, v8, 0
	v_add_nc_u32_e32 v12, 30, v8
	v_add_co_u32 v28, s1, s10, v4
	s_wait_alu 0xf1ff
	v_add_co_ci_u32_e64 v39, s1, s11, v5, s1
	s_delay_alu instid0(VALU_DEP_3) | instskip(SKIP_4) | instid1(VALU_DEP_4)
	v_mad_co_u64_u32 v[6:7], null, s8, v12, 0
	v_dual_mov_b32 v0, v3 :: v_dual_add_nc_u32 v15, 60, v8
	v_add_nc_u32_e32 v22, 0x96, v8
	v_add_nc_u32_e32 v24, 0xd2, v8
	;; [unrolled: 1-line block ×3, first 2 shown]
	v_mad_co_u64_u32 v[9:10], null, s9, v8, v[0:1]
	v_mov_b32_e32 v3, v7
	v_mad_co_u64_u32 v[10:11], null, s8, v15, 0
	v_add_nc_u32_e32 v17, 0x5a, v8
	v_add_nc_u32_e32 v36, 0x14a, v8
	s_delay_alu instid0(VALU_DEP_4) | instskip(NEXT) | instid1(VALU_DEP_4)
	v_mad_co_u64_u32 v[12:13], null, s9, v12, v[3:4]
	v_dual_mov_b32 v3, v9 :: v_dual_mov_b32 v0, v11
	s_delay_alu instid0(VALU_DEP_4) | instskip(NEXT) | instid1(VALU_DEP_3)
	v_mad_co_u64_u32 v[13:14], null, s8, v17, 0
	v_mov_b32_e32 v7, v12
	s_delay_alu instid0(VALU_DEP_3) | instskip(SKIP_4) | instid1(VALU_DEP_4)
	v_mad_co_u64_u32 v[11:12], null, s9, v15, v[0:1]
	v_add_nc_u32_e32 v12, 0x78, v8
	v_lshlrev_b64_e32 v[2:3], 2, v[2:3]
	v_mov_b32_e32 v0, v14
	v_lshlrev_b64_e32 v[6:7], 2, v[6:7]
	v_mad_co_u64_u32 v[15:16], null, s8, v12, 0
	s_delay_alu instid0(VALU_DEP_3) | instskip(SKIP_3) | instid1(VALU_DEP_4)
	v_mad_co_u64_u32 v[17:18], null, s9, v17, v[0:1]
	v_add_co_u32 v2, s1, v28, v2
	s_wait_alu 0xf1ff
	v_add_co_ci_u32_e64 v3, s1, v39, v3, s1
	v_mov_b32_e32 v0, v16
	v_add_co_u32 v18, s1, v28, v6
	s_wait_alu 0xf1ff
	v_add_co_ci_u32_e64 v19, s1, v39, v7, s1
	v_lshlrev_b64_e32 v[6:7], 2, v[10:11]
	v_mad_co_u64_u32 v[9:10], null, s8, v22, 0
	v_dual_mov_b32 v14, v17 :: v_dual_add_nc_u32 v17, 0xb4, v8
	v_mad_co_u64_u32 v[11:12], null, s9, v12, v[0:1]
	s_delay_alu instid0(VALU_DEP_4)
	v_add_co_u32 v20, s1, v28, v6
	s_wait_alu 0xf1ff
	v_add_co_ci_u32_e64 v21, s1, v39, v7, s1
	v_lshlrev_b64_e32 v[6:7], 2, v[13:14]
	v_mov_b32_e32 v0, v10
	v_mov_b32_e32 v16, v11
	v_mad_co_u64_u32 v[11:12], null, s8, v17, 0
	s_delay_alu instid0(VALU_DEP_3)
	v_mad_co_u64_u32 v[13:14], null, s9, v22, v[0:1]
	v_add_co_u32 v22, s1, v28, v6
	s_wait_alu 0xf1ff
	v_add_co_ci_u32_e64 v23, s1, v39, v7, s1
	v_lshlrev_b64_e32 v[6:7], 2, v[15:16]
	v_mad_co_u64_u32 v[14:15], null, s8, v24, 0
	v_mov_b32_e32 v0, v12
	v_mov_b32_e32 v10, v13
	s_delay_alu instid0(VALU_DEP_4) | instskip(NEXT) | instid1(VALU_DEP_3)
	v_add_co_u32 v16, s1, v28, v6
	v_mad_co_u64_u32 v[12:13], null, s9, v17, v[0:1]
	v_dual_mov_b32 v0, v15 :: v_dual_add_nc_u32 v13, 0xf0, v8
	s_wait_alu 0xf1ff
	v_add_co_ci_u32_e64 v17, s1, v39, v7, s1
	v_lshlrev_b64_e32 v[6:7], 2, v[9:10]
	s_delay_alu instid0(VALU_DEP_3) | instskip(SKIP_1) | instid1(VALU_DEP_3)
	v_mad_co_u64_u32 v[9:10], null, s9, v24, v[0:1]
	v_mad_co_u64_u32 v[24:25], null, s8, v13, 0
	v_add_co_u32 v30, s1, v28, v6
	s_wait_alu 0xf1ff
	s_delay_alu instid0(VALU_DEP_4) | instskip(NEXT) | instid1(VALU_DEP_4)
	v_add_co_ci_u32_e64 v31, s1, v39, v7, s1
	v_mov_b32_e32 v15, v9
	v_lshlrev_b64_e32 v[6:7], 2, v[11:12]
	v_mov_b32_e32 v0, v25
	v_mad_co_u64_u32 v[9:10], null, s8, v26, 0
	s_delay_alu instid0(VALU_DEP_4) | instskip(NEXT) | instid1(VALU_DEP_3)
	v_lshlrev_b64_e32 v[11:12], 2, v[14:15]
	v_mad_co_u64_u32 v[13:14], null, s9, v13, v[0:1]
	v_add_co_u32 v14, s1, v28, v6
	s_wait_alu 0xf1ff
	v_add_co_ci_u32_e64 v15, s1, v39, v7, s1
	v_dual_mov_b32 v0, v10 :: v_dual_add_nc_u32 v7, 0x12c, v8
	v_add_co_u32 v10, s1, v28, v11
	s_wait_alu 0xf1ff
	v_add_co_ci_u32_e64 v11, s1, v39, v12, s1
	s_delay_alu instid0(VALU_DEP_3)
	v_mad_co_u64_u32 v[32:33], null, s8, v7, 0
	v_mad_co_u64_u32 v[26:27], null, s9, v26, v[0:1]
	s_clause 0x7
	global_load_b32 v6, v[2:3], off
	global_load_b32 v34, v[18:19], off
	;; [unrolled: 1-line block ×8, first 2 shown]
	v_mad_co_u64_u32 v[15:16], null, s8, v36, 0
	v_dual_mov_b32 v0, v33 :: v_dual_add_nc_u32 v11, 0x186, v8
	v_dual_mov_b32 v25, v13 :: v_dual_mov_b32 v10, v26
	v_add_nc_u32_e32 v26, 0x1a4, v8
	s_delay_alu instid0(VALU_DEP_3) | instskip(NEXT) | instid1(VALU_DEP_4)
	v_mad_co_u64_u32 v[21:22], null, s8, v11, 0
	v_mad_co_u64_u32 v[17:18], null, s9, v7, v[0:1]
	v_dual_mov_b32 v0, v16 :: v_dual_add_nc_u32 v7, 0x168, v8
	v_lshlrev_b64_e32 v[13:14], 2, v[24:25]
	v_lshlrev_b64_e32 v[9:10], 2, v[9:10]
	s_delay_alu instid0(VALU_DEP_4) | instskip(NEXT) | instid1(VALU_DEP_4)
	v_mov_b32_e32 v33, v17
	v_mad_co_u64_u32 v[16:17], null, s9, v36, v[0:1]
	v_mad_co_u64_u32 v[17:18], null, s8, v7, 0
	s_delay_alu instid0(VALU_DEP_3)
	v_lshlrev_b64_e32 v[19:20], 2, v[32:33]
	v_add_co_u32 v13, s1, v28, v13
	s_wait_alu 0xf1ff
	v_add_co_ci_u32_e64 v14, s1, v39, v14, s1
	v_add_co_u32 v9, s1, v28, v9
	v_mov_b32_e32 v0, v18
	v_lshlrev_b64_e32 v[15:16], 2, v[15:16]
	s_wait_alu 0xf1ff
	v_add_co_ci_u32_e64 v10, s1, v39, v10, s1
	v_add_co_u32 v19, s1, v28, v19
	v_mad_co_u64_u32 v[23:24], null, s9, v7, v[0:1]
	v_mad_co_u64_u32 v[24:25], null, s8, v26, 0
	v_dual_mov_b32 v0, v22 :: v_dual_add_nc_u32 v7, 0x1c2, v8
	s_wait_alu 0xf1ff
	v_add_co_ci_u32_e64 v20, s1, v39, v20, s1
	s_delay_alu instid0(VALU_DEP_4) | instskip(NEXT) | instid1(VALU_DEP_3)
	v_mov_b32_e32 v18, v23
	v_mad_co_u64_u32 v[22:23], null, s9, v11, v[0:1]
	v_or_b32_e32 v11, 0x1e0, v8
	v_mad_co_u64_u32 v[30:31], null, s8, v7, 0
	v_mov_b32_e32 v0, v25
	v_lshlrev_b64_e32 v[17:18], 2, v[17:18]
	s_delay_alu instid0(VALU_DEP_4) | instskip(SKIP_1) | instid1(VALU_DEP_4)
	v_mad_co_u64_u32 v[32:33], null, s8, v11, 0
	v_add_co_u32 v15, s1, v28, v15
	v_mad_co_u64_u32 v[25:26], null, s9, v26, v[0:1]
	v_mov_b32_e32 v0, v31
	v_lshlrev_b64_e32 v[21:22], 2, v[21:22]
	s_wait_alu 0xf1ff
	v_add_co_ci_u32_e64 v16, s1, v39, v16, s1
	v_add_co_u32 v17, s1, v28, v17
	v_mad_co_u64_u32 v[36:37], null, s9, v7, v[0:1]
	v_mov_b32_e32 v0, v33
	v_lshlrev_b64_e32 v[23:24], 2, v[24:25]
	s_wait_alu 0xf1ff
	v_add_co_ci_u32_e64 v18, s1, v39, v18, s1
	v_add_co_u32 v21, s1, v28, v21
	v_mad_co_u64_u32 v[37:38], null, s9, v11, v[0:1]
	v_mov_b32_e32 v31, v36
	s_wait_alu 0xf1ff
	v_add_co_ci_u32_e64 v22, s1, v39, v22, s1
	v_add_co_u32 v23, s1, v28, v23
	s_delay_alu instid0(VALU_DEP_3) | instskip(SKIP_3) | instid1(VALU_DEP_2)
	v_lshlrev_b64_e32 v[25:26], 2, v[30:31]
	v_mov_b32_e32 v33, v37
	s_wait_alu 0xf1ff
	v_add_co_ci_u32_e64 v24, s1, v39, v24, s1
	v_lshlrev_b64_e32 v[30:31], 2, v[32:33]
	s_delay_alu instid0(VALU_DEP_4) | instskip(SKIP_2) | instid1(VALU_DEP_3)
	v_add_co_u32 v25, s1, v28, v25
	s_wait_alu 0xf1ff
	v_add_co_ci_u32_e64 v26, s1, v39, v26, s1
	v_add_co_u32 v30, s1, v28, v30
	s_wait_alu 0xf1ff
	v_add_co_ci_u32_e64 v31, s1, v39, v31, s1
	s_clause 0x8
	global_load_b32 v47, v[13:14], off
	global_load_b32 v48, v[9:10], off
	;; [unrolled: 1-line block ×9, first 2 shown]
	s_wait_loadcnt 0x10
	v_lshrrev_b32_e32 v0, 16, v6
	s_wait_loadcnt 0xf
	v_lshrrev_b32_e32 v46, 16, v34
	;; [unrolled: 2-line block ×17, first 2 shown]
.LBB0_10:
	s_wait_alu 0xfffe
	s_or_b32 exec_lo, exec_lo, s2
	s_delay_alu instid0(VALU_DEP_1)
	v_sub_f16_e32 v59, v46, v28
	v_mul_hi_u32 v7, 0x24924925, v1
	v_add_f16_e32 v20, v34, v55
	v_sub_f16_e32 v58, v45, v30
	v_add_f16_e32 v19, v35, v54
	v_pk_mul_f16 v18, 0xb964bb29, v59 op_sel_hi:[1,0]
	v_sub_f16_e32 v60, v44, v31
	v_add_f16_e32 v22, v29, v53
	v_pk_mul_f16 v17, 0xbbf7ba62, v58 op_sel_hi:[1,0]
	v_sub_nc_u32_e32 v10, v1, v7
	v_pk_fma_f16 v9, 0x39e93722, v20, v18 op_sel_hi:[1,0,1] neg_lo:[0,0,1] neg_hi:[0,0,1]
	v_sub_f16_e32 v61, v43, v32
	v_pk_mul_f16 v16, 0xba6231e1, v60 op_sel_hi:[1,0]
	v_pk_fma_f16 v11, 0x2de8b8d2, v19, v17 op_sel_hi:[1,0,1] neg_lo:[0,0,1] neg_hi:[0,0,1]
	v_lshrrev_b32_e32 v10, 1, v10
	v_pk_add_f16 v9, v6, v9 op_sel_hi:[0,1]
	v_add_f16_e32 v23, v27, v52
	v_sub_f16_e32 v62, v42, v33
	v_pk_mul_f16 v15, 0xb1e13bb2, v61 op_sel_hi:[1,0]
	v_pk_fma_f16 v13, 0xb8d2bbdd, v22, v16 op_sel_hi:[1,0,1] neg_lo:[0,0,1] neg_hi:[0,0,1]
	v_pk_add_f16 v9, v11, v9
	v_add_nc_u32_e32 v7, v10, v7
	v_add_f16_e32 v25, v12, v51
	v_pk_mul_f16 v14, 0x38363964, v62 op_sel_hi:[1,0]
	v_pk_fma_f16 v11, 0xbbddb461, v23, v15 op_sel_hi:[1,0,1] neg_lo:[0,0,1] neg_hi:[0,0,1]
	v_pk_add_f16 v9, v13, v9
	v_sub_f16_e32 v63, v41, v36
	v_lshrrev_b32_e32 v7, 2, v7
	v_add_f16_e32 v57, v3, v50
	v_pk_fma_f16 v13, 0xbacd39e9, v25, v14 op_sel_hi:[1,0,1] neg_lo:[0,0,1] neg_hi:[0,0,1]
	v_pk_add_f16 v9, v11, v9
	v_pk_mul_f16 v10, 0x3bb2b5c8, v63 op_sel_hi:[1,0]
	v_sub_f16_e32 v56, v40, v37
	v_mul_lo_u32 v7, v7, 7
	v_add_f16_e32 v24, v2, v49
	v_pk_add_f16 v9, v13, v9
	v_pk_fma_f16 v11, 0xb4613b76, v57, v10 op_sel_hi:[1,0,1] neg_lo:[0,0,1] neg_hi:[0,0,1]
	v_sub_f16_e32 v26, v39, v38
	v_pk_mul_f16 v13, 0x3b29bbf7, v56 op_sel_hi:[1,0]
	v_add_f16_e32 v21, v47, v48
	s_delay_alu instid0(VALU_DEP_4) | instskip(NEXT) | instid1(VALU_DEP_4)
	v_pk_add_f16 v11, v11, v9
	v_pk_mul_f16 v9, 0x35c8b836, v26 op_sel_hi:[1,0]
	s_delay_alu instid0(VALU_DEP_4) | instskip(SKIP_1) | instid1(VALU_DEP_3)
	v_pk_fma_f16 v64, 0x37222de8, v24, v13 op_sel_hi:[1,0,1] neg_lo:[0,0,1] neg_hi:[0,0,1]
	v_sub_nc_u32_e32 v1, v1, v7
	v_pk_fma_f16 v7, 0x3b76bacd, v21, v9 op_sel_hi:[1,0,1] neg_lo:[0,0,1] neg_hi:[0,0,1]
	s_delay_alu instid0(VALU_DEP_3) | instskip(NEXT) | instid1(VALU_DEP_3)
	v_pk_add_f16 v11, v64, v11
	v_mul_u32_u24_e32 v1, 0x1fe, v1
	s_delay_alu instid0(VALU_DEP_2) | instskip(NEXT) | instid1(VALU_DEP_2)
	v_pk_add_f16 v7, v7, v11
	v_lshlrev_b32_e32 v11, 1, v1
	s_and_saveexec_b32 s1, s0
	s_cbranch_execz .LBB0_12
; %bb.11:
	v_mul_f16_e32 v85, 0x2de8, v20
	v_mul_f16_e32 v91, 0xbbdd, v19
	;; [unrolled: 1-line block ×5, first 2 shown]
	v_fmamk_f16 v90, v59, 0x3bf7, v85
	v_fmamk_f16 v95, v58, 0x31e1, v91
	v_fmac_f16_e32 v85, 0xbbf7, v59
	v_mul_f16_e32 v103, 0xbacd, v57
	v_fmac_f16_e32 v91, 0xb1e1, v58
	v_add_f16_e32 v90, v6, v90
	v_pk_mul_f16 v64, 0x39e93722, v20 op_sel_hi:[1,0]
	v_add_f16_e32 v85, v6, v85
	v_pk_mul_f16 v68, 0x2de8b8d2, v19 op_sel_hi:[1,0]
	v_pk_mul_f16 v71, 0xb8d2bbdd, v22 op_sel_hi:[1,0]
	v_add_f16_e32 v90, v95, v90
	v_fmamk_f16 v95, v60, 0xbbb2, v96
	v_add_f16_e32 v85, v91, v85
	v_fmac_f16_e32 v96, 0x3bb2, v60
	v_pack_b32_f16 v65, v59, v59
	v_mul_f16_e32 v59, 0xb5c8, v59
	v_add_f16_e32 v90, v95, v90
	v_fmamk_f16 v95, v61, 0xb5c8, v100
	v_add_f16_e32 v85, v96, v85
	v_fmac_f16_e32 v100, 0x35c8, v61
	v_add_f16_e32 v96, v17, v68
	v_pack_b32_f16 v1, v20, v20
	v_add_f16_e32 v90, v95, v90
	v_fmamk_f16 v95, v62, 0x3b29, v102
	v_add_f16_e32 v85, v100, v85
	v_fmac_f16_e32 v102, 0xbb29, v62
	v_pack_b32_f16 v69, v58, v58
	v_mul_f16_e32 v58, 0xb964, v58
	v_add_f16_e32 v90, v95, v90
	v_fmamk_f16 v95, v63, 0x3836, v103
	v_add_f16_e32 v85, v102, v85
	v_add_f16_e32 v102, v6, v34
	v_fmac_f16_e32 v103, 0xb836, v63
	v_perm_b32 v66, v6, v6, 0x5040100
	v_add_f16_e32 v90, v95, v90
	v_add_f16_e32 v95, v18, v64
	v_pack_b32_f16 v67, v19, v19
	v_add_f16_e32 v85, v103, v85
	v_fma_f16 v103, v20, 0x3b76, -v59
	v_mul_f16_e32 v20, 0x3b76, v20
	v_add_f16_e32 v95, v6, v95
	v_pack_b32_f16 v72, v60, v60
	v_mul_f16_e32 v60, 0xbb29, v60
	v_add_f16_e32 v6, v6, v103
	v_fma_f16 v103, v19, 0x39e9, -v58
	v_add_f16_e32 v95, v96, v95
	v_add_f16_e32 v96, v16, v71
	v_mul_f16_e32 v19, 0x39e9, v19
	v_bfi_b32 v18, 0xffff, v59, v18
	v_bfi_b32 v20, 0xffff, v20, v64
	v_pack_b32_f16 v70, v22, v22
	v_add_f16_e32 v95, v96, v95
	v_add_f16_e32 v96, v102, v35
	v_pack_b32_f16 v75, v61, v61
	v_add_f16_e32 v6, v103, v6
	v_fma_f16 v103, v22, 0x3722, -v60
	v_mul_f16_e32 v61, 0xbbf7, v61
	v_add_f16_e32 v96, v96, v29
	v_mul_f16_e32 v22, 0x3722, v22
	v_pk_add_f16 v18, v18, v20
	v_bfi_b32 v17, 0xffff, v58, v17
	v_bfi_b32 v19, 0xffff, v19, v68
	v_add_f16_e32 v96, v96, v27
	v_pack_b32_f16 v73, v23, v23
	v_pk_mul_f16 v74, 0xbbddb461, v23 op_sel_hi:[1,0]
	v_pack_b32_f16 v78, v62, v62
	v_add_f16_e32 v6, v103, v6
	v_add_f16_e32 v96, v96, v12
	v_fma_f16 v103, v23, 0x2de8, -v61
	v_mul_f16_e32 v62, 0xbbb2, v62
	v_mul_f16_e32 v23, 0x2de8, v23
	v_pk_add_f16 v18, v66, v18
	v_add_f16_e32 v96, v96, v3
	v_pk_add_f16 v17, v17, v19
	v_bfi_b32 v16, 0xffff, v60, v16
	v_bfi_b32 v19, 0xffff, v22, v71
	v_pack_b32_f16 v76, v25, v25
	v_pk_mul_f16 v77, 0xbacd39e9, v25 op_sel_hi:[1,0]
	v_add_f16_e32 v102, v15, v74
	v_add_f16_e32 v96, v96, v2
	;; [unrolled: 1-line block ×3, first 2 shown]
	v_fma_f16 v103, v25, 0xb461, -v62
	v_mul_f16_e32 v25, 0xb461, v25
	v_pk_add_f16 v17, v17, v18
	v_pk_add_f16 v16, v16, v19
	v_bfi_b32 v15, 0xffff, v61, v15
	v_bfi_b32 v18, 0xffff, v23, v74
	v_pack_b32_f16 v81, v63, v63
	v_pk_mul_f16 v89, 0xb1e1b836, v65
	v_pk_mul_f16 v65, 0xba62bbb2, v65
	v_add_f16_e32 v95, v102, v95
	v_add_f16_e32 v102, v14, v77
	v_mul_f16_e32 v63, 0xba62, v63
	v_add_f16_e32 v96, v96, v47
	v_pk_add_f16 v16, v16, v17
	v_pk_add_f16 v15, v15, v18
	v_bfi_b32 v14, 0xffff, v62, v14
	v_bfi_b32 v17, 0xffff, v25, v77
	v_pack_b32_f16 v79, v57, v57
	v_pk_mul_f16 v80, 0xb4613b76, v57 op_sel_hi:[1,0]
	v_pk_mul_f16 v92, 0x35c83b29, v69
	v_pk_mul_f16 v69, 0x3bb23836, v69
	v_mul_f16_e32 v104, 0xb8d2, v24
	v_add_f16_e32 v6, v103, v6
	v_fma_f16 v103, v57, 0xb8d2, -v63
	v_add_f16_e32 v96, v96, v48
	v_mul_f16_e32 v57, 0xb8d2, v57
	v_pk_add_f16 v15, v15, v16
	v_pk_add_f16 v14, v14, v17
	v_pk_fma_f16 v16, 0xb8d2b461, v1, v65
	v_pk_mul_f16 v83, 0x37222de8, v24 op_sel_hi:[1,0]
	v_pack_b32_f16 v84, v56, v56
	v_pk_mul_f16 v93, 0xb836bbf7, v72
	v_pk_mul_f16 v72, 0xb5c83964, v72
	v_fmamk_f16 v91, v56, 0xba62, v104
	v_fmac_f16_e32 v104, 0x3a62, v56
	v_add_f16_e32 v95, v102, v95
	v_add_f16_e32 v102, v10, v80
	;; [unrolled: 1-line block ×3, first 2 shown]
	v_mul_f16_e32 v20, 0xbacd, v24
	v_mul_f16_e32 v56, 0xb836, v56
	v_bfi_b32 v10, 0xffff, v63, v10
	v_bfi_b32 v17, 0xffff, v57, v80
	v_pk_add_f16 v14, v14, v15
	v_pk_add_f16 v15, v66, v16
	v_pk_fma_f16 v16, 0xb461bacd, v67, v69
	v_pack_b32_f16 v82, v24, v24
	v_pk_mul_f16 v87, 0x3b76bacd, v21 op_sel_hi:[1,0]
	v_pk_mul_f16 v94, 0x39643a62, v75
	v_pk_mul_f16 v75, 0xb836bb29, v75
	v_add_f16_e32 v95, v102, v95
	v_pk_add_f16 v102, v13, v83
	v_add_f16_e32 v58, v59, v50
	v_fma_f16 v22, v24, 0xbacd, -v56
	v_mul_f16_e32 v24, 0xb1e1, v26
	v_mul_f16_e32 v18, 0xbbdd, v21
	v_pk_add_f16 v10, v10, v17
	v_bfi_b32 v13, 0xffff, v56, v13
	v_bfi_b32 v17, 0xffff, v20, v83
	v_pk_add_f16 v15, v16, v15
	v_pk_fma_f16 v16, 0x3b7639e9, v70, v72
	v_pack_b32_f16 v88, v26, v26
	v_pk_mul_f16 v97, 0xba62b5c8, v78
	v_pk_mul_f16 v78, 0x3bf7b1e1, v78
	v_add_f16_e32 v90, v91, v90
	v_mul_f16_e32 v91, 0x3964, v26
	v_add_f16_e32 v6, v103, v6
	v_add_f16_e32 v26, v58, v51
	v_pk_add_f16 v10, v10, v14
	v_pk_add_f16 v13, v13, v17
	v_bfi_b32 v14, 0xffff, v24, v9
	v_bfi_b32 v17, 0xffff, v18, v87
	v_pk_add_f16 v15, v16, v15
	v_pk_fma_f16 v16, 0xbacd3722, v73, v75
	v_pk_mul_f16 v98, 0x3b29b1e1, v81
	v_pk_mul_f16 v81, 0xb9643bf7, v81
	v_mul_f16_e32 v100, 0x39e9, v21
	v_add_f16_e32 v6, v22, v6
	v_fma_f16 v19, v21, 0xbbdd, -v24
	v_add_f16_e32 v22, v26, v52
	v_pk_add_f16 v10, v13, v10
	v_pk_add_f16 v13, v14, v17
	;; [unrolled: 1-line block ×3, first 2 shown]
	v_pk_fma_f16 v15, 0x2de8bbdd, v76, v78
	v_add_f16_e32 v6, v19, v6
	v_add_f16_e32 v19, v22, v53
	v_pack_b32_f16 v16, v102, v91
	v_pack_b32_f16 v17, v95, v100
	v_pk_add_f16 v14, v15, v14
	v_pk_fma_f16 v15, 0x39e92de8, v79, v81
	v_add_f16_e32 v19, v19, v54
	v_perm_b32 v9, v104, v9, 0x5040100
	v_perm_b32 v18, v85, v87, 0x5040100
	v_pk_add_f16 v13, v13, v10
	v_pk_add_f16 v10, v16, v17
	v_pk_fma_f16 v16, 0xbbddbacd, v1, v89 neg_lo:[0,0,1] neg_hi:[0,0,1]
	v_pk_add_f16 v14, v15, v14
	v_pk_fma_f16 v15, 0xb8d2b461, v1, v65 neg_lo:[0,0,1] neg_hi:[0,0,1]
	v_mul_u32_u24_e32 v20, 34, v8
	v_pk_fma_f16 v1, 0xbbddbacd, v1, v89
	v_pack_b32_f16 v86, v21, v21
	v_fma_f16 v105, v21, 0x39e9, -v91
	v_add_f16_e32 v21, v19, v55
	v_pk_add_f16 v9, v9, v18
	v_pk_add_f16 v16, v66, v16
	v_pk_fma_f16 v18, 0x3b763722, v67, v92 neg_lo:[0,0,1] neg_hi:[0,0,1]
	v_pk_add_f16 v15, v66, v15
	v_pk_fma_f16 v19, 0xb461bacd, v67, v69 neg_lo:[0,0,1] neg_hi:[0,0,1]
	v_add3_u32 v22, 0, v20, v11
	v_pk_add_f16 v1, v66, v1
	v_pk_fma_f16 v20, 0x3b763722, v67, v92
	v_pk_add_f16 v16, v18, v16
	v_pk_fma_f16 v18, 0xbacd2de8, v70, v93 neg_lo:[0,0,1] neg_hi:[0,0,1]
	v_pk_add_f16 v15, v19, v15
	v_pk_fma_f16 v19, 0x3b7639e9, v70, v72 neg_lo:[0,0,1] neg_hi:[0,0,1]
	v_pk_add_f16 v1, v20, v1
	v_pk_fma_f16 v20, 0xbacd2de8, v70, v93
	v_pk_add_f16 v16, v18, v16
	v_pk_fma_f16 v18, 0x39e9b8d2, v73, v94 neg_lo:[0,0,1] neg_hi:[0,0,1]
	v_pk_add_f16 v15, v19, v15
	v_pk_fma_f16 v19, 0xbacd3722, v73, v75 neg_lo:[0,0,1] neg_hi:[0,0,1]
	;; [unrolled: 6-line block ×3, first 2 shown]
	v_pk_mul_f16 v99, 0xbbb23964, v84
	v_pk_mul_f16 v84, 0xb1e1b5c8, v84
	v_pk_add_f16 v1, v20, v1
	v_pk_fma_f16 v20, 0xb8d23b76, v76, v97
	v_pk_add_f16 v16, v18, v16
	v_pk_fma_f16 v18, 0x3722bbdd, v79, v98 neg_lo:[0,0,1] neg_hi:[0,0,1]
	v_pk_add_f16 v15, v19, v15
	v_pk_fma_f16 v19, 0x39e92de8, v79, v81 neg_lo:[0,0,1] neg_hi:[0,0,1]
	v_pk_fma_f16 v17, 0xbbdd3b76, v82, v84
	v_pk_add_f16 v1, v20, v1
	v_pk_fma_f16 v20, 0x3722bbdd, v79, v98
	v_pk_mul_f16 v101, 0x3bf7bbb2, v88
	v_pk_mul_f16 v88, 0x3b29ba62, v88
	v_pk_add_f16 v16, v18, v16
	v_pk_fma_f16 v18, 0xb46139e9, v82, v99 neg_lo:[0,0,1] neg_hi:[0,0,1]
	v_pk_add_f16 v15, v19, v15
	v_pk_fma_f16 v19, 0xbbdd3b76, v82, v84 neg_lo:[0,0,1] neg_hi:[0,0,1]
	v_pk_add_f16 v17, v17, v14
	v_pk_add_f16 v1, v20, v1
	v_pk_fma_f16 v14, 0xb46139e9, v82, v99
	v_pk_add_f16 v16, v18, v16
	v_pk_add_f16 v15, v19, v15
	v_pk_fma_f16 v18, 0x3722b8d2, v86, v88 neg_lo:[0,0,1] neg_hi:[0,0,1]
	v_pk_fma_f16 v19, 0x2de8b461, v86, v101 neg_lo:[0,0,1] neg_hi:[0,0,1]
	v_pk_fma_f16 v20, 0x3722b8d2, v86, v88
	v_pk_add_f16 v1, v14, v1
	v_pk_fma_f16 v23, 0x2de8b461, v86, v101
	v_add_f16_e32 v90, v105, v90
	v_pk_add_f16 v18, v18, v15
	v_pk_add_f16 v19, v19, v16
	;; [unrolled: 1-line block ×5, first 2 shown]
	v_alignbit_b32 v18, v18, v18, 16
	v_alignbit_b32 v17, v19, v19, 16
	v_perm_b32 v19, v7, v90, 0x5040100
	v_alignbit_b32 v20, v6, v7, 16
	ds_store_b16 v22, v21
	ds_store_b128 v22, v[13:16] offset:2
	ds_store_b128 v22, v[17:20] offset:18
.LBB0_12:
	s_wait_alu 0xfffe
	s_or_b32 exec_lo, exec_lo, s1
	v_lshlrev_b32_e32 v6, 1, v8
	global_wb scope:SCOPE_SE
	s_wait_dscnt 0x0
	s_barrier_signal -1
	s_barrier_wait -1
	global_inv scope:SCOPE_SE
	v_add_nc_u32_e32 v1, 0, v6
	v_add3_u32 v9, 0, v11, v6
	v_cmp_gt_u32_e64 s1, 17, v8
	s_delay_alu instid0(VALU_DEP_3)
	v_add_nc_u32_e32 v10, v1, v11
	ds_load_u16 v26, v9
	ds_load_u16 v20, v10 offset:68
	ds_load_u16 v21, v10 offset:136
	;; [unrolled: 1-line block ×13, first 2 shown]
	s_and_saveexec_b32 s2, s1
	s_cbranch_execz .LBB0_14
; %bb.13:
	ds_load_u16 v7, v10 offset:476
	s_wait_dscnt 0x0
	ds_load_u16_d16_hi v7, v10 offset:986
.LBB0_14:
	s_wait_alu 0xfffe
	s_or_b32 exec_lo, exec_lo, s2
	v_sub_f16_e32 v65, v34, v55
	v_add_f16_e32 v57, v46, v28
	v_sub_f16_e32 v63, v35, v54
	v_add_f16_e32 v60, v45, v30
	v_sub_f16_e32 v66, v29, v53
	v_pk_mul_f16 v54, 0xb964bb29, v65 op_sel_hi:[1,0]
	v_add_f16_e32 v61, v44, v31
	v_pk_mul_f16 v53, 0xbbf7ba62, v63 op_sel_hi:[1,0]
	v_sub_f16_e32 v64, v27, v52
	v_pk_mul_f16 v52, 0xba6231e1, v66 op_sel_hi:[1,0]
	v_pk_fma_f16 v29, 0x39e93722, v57, v54 op_sel_hi:[1,0,1]
	v_add_f16_e32 v62, v43, v32
	v_pk_fma_f16 v27, 0x2de8b8d2, v60, v53 op_sel_hi:[1,0,1]
	v_sub_f16_e32 v59, v12, v51
	v_pk_mul_f16 v51, 0xb1e13bb2, v64 op_sel_hi:[1,0]
	v_pk_add_f16 v29, v0, v29 op_sel_hi:[0,1]
	v_pk_fma_f16 v12, 0xb8d2bbdd, v61, v52 op_sel_hi:[1,0,1]
	v_add_f16_e32 v55, v42, v33
	v_sub_f16_e32 v58, v3, v50
	v_pk_mul_f16 v35, 0x38363964, v59 op_sel_hi:[1,0]
	v_pk_add_f16 v27, v27, v29
	v_pk_fma_f16 v3, 0xbbddb461, v62, v51 op_sel_hi:[1,0,1]
	v_add_f16_e32 v56, v41, v36
	v_sub_f16_e32 v50, v2, v49
	v_pk_mul_f16 v34, 0x3bb2b5c8, v58 op_sel_hi:[1,0]
	v_pk_add_f16 v12, v12, v27
	v_pk_fma_f16 v2, 0xbacd39e9, v55, v35 op_sel_hi:[1,0,1]
	v_add_f16_e32 v49, v40, v37
	v_pk_mul_f16 v29, 0x3b29bbf7, v50 op_sel_hi:[1,0]
	v_pk_fma_f16 v27, 0xb4613b76, v56, v34 op_sel_hi:[1,0,1]
	v_pk_add_f16 v3, v3, v12
	v_sub_f16_e32 v12, v47, v48
	global_wb scope:SCOPE_SE
	s_wait_dscnt 0x0
	v_pk_fma_f16 v47, 0x37222de8, v49, v29 op_sel_hi:[1,0,1]
	s_barrier_signal -1
	v_pk_add_f16 v3, v2, v3
	v_add_f16_e32 v2, v39, v38
	s_barrier_wait -1
	global_inv scope:SCOPE_SE
	v_pk_add_f16 v3, v27, v3
	v_pk_mul_f16 v27, 0x35c8b836, v12 op_sel_hi:[1,0]
	s_delay_alu instid0(VALU_DEP_2) | instskip(NEXT) | instid1(VALU_DEP_2)
	v_pk_add_f16 v3, v47, v3
	v_pk_fma_f16 v47, 0x3b76bacd, v2, v27 op_sel_hi:[1,0,1]
	s_delay_alu instid0(VALU_DEP_1)
	v_pk_add_f16 v3, v47, v3
	s_and_saveexec_b32 s2, s0
	s_cbranch_execz .LBB0_16
; %bb.15:
	v_add_f16_e32 v46, v0, v46
	v_mul_f16_e32 v85, 0xb5c8, v65
	v_pack_b32_f16 v47, v57, v57
	v_pk_mul_f16 v48, 0x39e93722, v57 op_sel_hi:[1,0]
	v_mul_f16_e32 v84, 0x3b76, v57
	v_add_f16_e32 v45, v46, v45
	v_mul_f16_e32 v86, 0xbbdd, v57
	v_mul_f16_e32 v87, 0xb964, v63
	v_fmamk_f16 v93, v57, 0x3b76, v85
	v_pack_b32_f16 v67, v65, v65
	v_add_f16_e32 v44, v45, v44
	v_pack_b32_f16 v46, v60, v60
	v_pk_mul_f16 v69, 0x2de8b8d2, v60 op_sel_hi:[1,0]
	v_mul_f16_e32 v88, 0x3b76, v60
	v_mul_f16_e32 v89, 0xbb29, v66
	v_add_f16_e32 v43, v44, v43
	v_add_f16_e32 v93, v0, v93
	v_pack_b32_f16 v70, v63, v63
	v_pack_b32_f16 v71, v61, v61
	v_pk_mul_f16 v45, 0xb8d2bbdd, v61 op_sel_hi:[1,0]
	v_add_f16_e32 v42, v43, v42
	v_mul_f16_e32 v90, 0xbacd, v61
	v_mul_f16_e32 v91, 0xbbf7, v64
	v_pack_b32_f16 v44, v64, v64
	v_pack_b32_f16 v77, v59, v59
	v_add_f16_e32 v41, v42, v41
	v_pack_b32_f16 v79, v58, v58
	v_pack_b32_f16 v81, v50, v50
	;; [unrolled: 1-line block ×4, first 2 shown]
	v_add_f16_e32 v40, v41, v40
	v_pk_mul_f16 v74, 0xbbddb461, v62 op_sel_hi:[1,0]
	v_pack_b32_f16 v80, v49, v49
	v_pk_mul_f16 v42, 0x37222de8, v49 op_sel_hi:[1,0]
	v_mul_f16_e32 v92, 0x39e9, v62
	v_add_f16_e32 v39, v40, v39
	v_mul_f16_e32 v40, 0xb1e1, v65
	v_mul_f16_e32 v65, 0x39e9, v60
	v_perm_b32 v68, v0, v0, 0x5040100
	v_pk_mul_f16 v76, 0xbacd39e9, v55 op_sel_hi:[1,0]
	v_add_f16_e32 v38, v39, v38
	v_mul_f16_e32 v39, 0x35c8, v63
	v_fma_f16 v57, v57, 0xbbdd, -v40
	v_mul_f16_e32 v63, 0x3722, v61
	v_pk_mul_f16 v78, 0xb4613b76, v56 op_sel_hi:[1,0]
	v_add_f16_e32 v37, v38, v37
	v_mul_f16_e32 v38, 0xb836, v66
	v_add_f16_e32 v57, v0, v57
	v_mul_f16_e32 v66, 0x2de8, v62
	v_pk_mul_f16 v83, 0x3b76bacd, v2 op_sel_hi:[1,0]
	v_add_f16_e32 v36, v37, v36
	v_mul_f16_e32 v37, 0x3964, v64
	v_mul_f16_e32 v64, 0xbbb2, v59
	v_pack_b32_f16 v75, v55, v55
	v_pack_b32_f16 v43, v56, v56
	v_add_f16_e32 v33, v36, v33
	v_fmamk_f16 v36, v60, 0x39e9, v87
	v_fma_f16 v60, v60, 0x3b76, -v39
	v_pack_b32_f16 v82, v2, v2
	v_pack_b32_f16 v41, v12, v12
	v_add_f16_e32 v32, v33, v32
	v_fmamk_f16 v33, v61, 0x3722, v89
	v_fma_f16 v61, v61, 0xbacd, -v38
	v_add_f16_e32 v36, v36, v93
	v_add_f16_e32 v57, v60, v57
	;; [unrolled: 1-line block ×3, first 2 shown]
	v_fmamk_f16 v32, v62, 0x2de8, v91
	v_fma_f16 v60, v62, 0x39e9, -v37
	v_add_f16_e32 v33, v33, v36
	v_add_f16_e32 v36, v61, v57
	;; [unrolled: 1-line block ×3, first 2 shown]
	v_fmamk_f16 v57, v55, 0xb461, v64
	v_mul_f16_e32 v31, 0xba62, v59
	v_add_f16_e32 v32, v32, v33
	v_add_f16_e32 v33, v60, v36
	;; [unrolled: 1-line block ×3, first 2 shown]
	v_mul_f16_e32 v28, 0xba62, v58
	v_mul_f16_e32 v60, 0xb836, v50
	v_add_f16_e32 v32, v57, v32
	v_fma_f16 v57, v55, 0xb8d2, -v31
	v_mul_f16_e32 v58, 0x3b29, v58
	v_fmamk_f16 v59, v56, 0xb8d2, v28
	v_mul_f16_e32 v50, 0xbbb2, v50
	v_mul_f16_e32 v62, 0xb461, v49
	v_add_f16_e32 v33, v57, v33
	v_fma_f16 v57, v56, 0x3722, -v58
	v_add_f16_e32 v32, v59, v32
	v_fmamk_f16 v59, v49, 0xbacd, v60
	v_mul_f16_e32 v30, 0xb461, v55
	v_mul_f16_e32 v61, 0xb8d2, v56
	v_add_f16_e32 v33, v57, v33
	v_mul_f16_e32 v57, 0xbacd, v49
	v_add_f16_e32 v32, v59, v32
	v_sub_f16_e32 v59, v48, v54
	v_bfi_b32 v48, 0xffff, v84, v48
	v_bfi_b32 v54, 0xffff, v85, v54
	v_fma_f16 v49, v49, 0xb461, -v50
	v_sub_f16_e32 v84, v69, v53
	v_add_f16_e32 v59, v0, v59
	v_bfi_b32 v53, 0xffff, v87, v53
	v_pk_add_f16 v48, v48, v54 neg_lo:[0,1] neg_hi:[0,1]
	v_bfi_b32 v54, 0xffff, v65, v69
	v_add_f16_e32 v33, v49, v33
	v_add_f16_e32 v49, v84, v59
	v_sub_f16_e32 v59, v45, v52
	v_pk_add_f16 v48, v68, v48
	v_pk_add_f16 v53, v54, v53 neg_lo:[0,1] neg_hi:[0,1]
	v_bfi_b32 v45, 0xffff, v63, v45
	v_bfi_b32 v52, 0xffff, v89, v52
	v_add_f16_e32 v49, v59, v49
	v_sub_f16_e32 v59, v74, v51
	v_pk_add_f16 v48, v53, v48
	v_bfi_b32 v51, 0xffff, v91, v51
	v_pk_add_f16 v45, v45, v52 neg_lo:[0,1] neg_hi:[0,1]
	v_bfi_b32 v52, 0xffff, v66, v74
	v_add_f16_e32 v49, v59, v49
	v_sub_f16_e32 v59, v76, v35
	v_bfi_b32 v30, 0xffff, v30, v76
	v_pk_add_f16 v45, v45, v48
	v_pk_add_f16 v48, v52, v51 neg_lo:[0,1] neg_hi:[0,1]
	v_bfi_b32 v35, 0xffff, v64, v35
	v_add_f16_e32 v49, v59, v49
	v_sub_f16_e32 v52, v78, v34
	v_bfi_b32 v28, 0xffff, v28, v34
	v_pk_add_f16 v45, v48, v45
	v_pk_add_f16 v30, v30, v35 neg_lo:[0,1] neg_hi:[0,1]
	v_bfi_b32 v35, 0xffff, v61, v78
	v_add_f16_e32 v34, v52, v49
	v_pk_mul_f16 v49, 0xbbb2bbf7, v67
	v_sub_f16_e32 v48, v42, v29
	v_pk_add_f16 v30, v30, v45
	v_pk_add_f16 v28, v35, v28 neg_lo:[0,1] neg_hi:[0,1]
	v_bfi_b32 v35, 0xffff, v57, v42
	v_bfi_b32 v29, 0xffff, v60, v29
	v_fmamk_f16 v42, v47, 0x2de8, v49
	v_pk_fma_f16 v45, 0xb4612de8, v47, v49 neg_lo:[0,0,1] neg_hi:[0,0,1]
	v_pk_mul_f16 v49, 0x3836b1e1, v70
	v_mul_f16_e32 v54, 0xbbdd, v2
	v_mul_f16_e32 v53, 0xb1e1, v12
	v_pk_add_f16 v28, v28, v30
	v_pk_add_f16 v29, v35, v29 neg_lo:[0,1] neg_hi:[0,1]
	v_add_f16_e32 v0, v0, v42
	v_pk_add_f16 v30, v68, v45
	v_fmamk_f16 v35, v46, 0xbbdd, v49
	v_pk_fma_f16 v42, 0xbacdbbdd, v46, v49 neg_lo:[0,0,1] neg_hi:[0,0,1]
	v_pk_mul_f16 v45, 0x39643bb2, v72
	v_bfi_b32 v49, 0xffff, v54, v83
	v_bfi_b32 v52, 0xffff, v53, v27
	v_add_f16_e32 v0, v35, v0
	v_pk_add_f16 v30, v42, v30
	v_fmamk_f16 v35, v71, 0xb461, v45
	v_pk_fma_f16 v42, 0x39e9b461, v71, v45 neg_lo:[0,0,1] neg_hi:[0,0,1]
	v_pk_mul_f16 v45, 0xbb2935c8, v44
	v_pk_add_f16 v28, v29, v28
	v_pk_add_f16 v29, v49, v52 neg_lo:[0,1] neg_hi:[0,1]
	v_add_f16_e32 v0, v35, v0
	v_pk_add_f16 v30, v42, v30
	v_fmamk_f16 v35, v73, 0x3b76, v45
	v_pk_fma_f16 v42, 0x37223b76, v73, v45 neg_lo:[0,0,1] neg_hi:[0,0,1]
	v_pk_mul_f16 v45, 0xb1e1bb29, v77
	v_add_f16_e32 v34, v48, v34
	v_pk_add_f16 v48, v29, v28
	v_add_f16_e32 v0, v35, v0
	v_pk_add_f16 v28, v42, v30
	v_fmamk_f16 v29, v75, 0x3722, v45
	v_pk_mul_f16 v30, 0x3bf7b836, v79
	v_pk_fma_f16 v35, 0xbbdd3722, v75, v45 neg_lo:[0,0,1] neg_hi:[0,0,1]
	v_pk_mul_f16 v42, 0xb836ba62, v67
	v_pk_mul_f16 v49, 0x3b293bb2, v70
	v_add_f16_e32 v0, v29, v0
	v_fmamk_f16 v29, v43, 0xbacd, v30
	v_pk_add_f16 v28, v35, v28
	v_pk_mul_f16 v35, 0xb5c83a62, v81
	v_pk_fma_f16 v45, 0xbacdb8d2, v47, v42 neg_lo:[0,0,1] neg_hi:[0,0,1]
	v_fmamk_f16 v51, v2, 0xbbdd, v53
	v_sub_f16_e32 v27, v83, v27
	v_add_f16_e32 v0, v29, v0
	v_pk_fma_f16 v29, 0x2de8bacd, v43, v30 neg_lo:[0,0,1] neg_hi:[0,0,1]
	v_fmamk_f16 v30, v80, 0xb8d2, v35
	v_pk_add_f16 v45, v68, v45
	v_pk_fma_f16 v52, 0x3722b461, v46, v49 neg_lo:[0,0,1] neg_hi:[0,0,1]
	v_pk_mul_f16 v53, 0xbbf7b5c8, v72
	v_add_f16_e32 v27, v27, v34
	v_pk_add_f16 v28, v29, v28
	v_add_f16_e32 v0, v30, v0
	v_pk_add_f16 v29, v52, v45
	v_pk_fma_f16 v30, 0x2de83b76, v71, v53 neg_lo:[0,0,1] neg_hi:[0,0,1]
	v_pk_mul_f16 v34, 0x3a62b836, v44
	v_pk_fma_f16 v35, 0x3b76b8d2, v80, v35 neg_lo:[0,0,1] neg_hi:[0,0,1]
	v_pk_mul_f16 v45, 0xb8d239e9, v82
	v_pk_mul_f16 v52, 0xba623964, v41
	v_pk_add_f16 v29, v30, v29
	v_pk_fma_f16 v30, 0xb8d2bacd, v73, v34 neg_lo:[0,0,1] neg_hi:[0,0,1]
	v_pk_mul_f16 v54, 0xb5c83bf7, v77
	v_pk_add_f16 v28, v35, v28
	v_add_f16_e32 v35, v45, v52
	v_pk_fma_f16 v45, 0xb8d239e9, v82, v52 neg_lo:[0,0,1] neg_hi:[0,0,1]
	v_pk_add_f16 v30, v30, v29
	v_pk_fma_f16 v52, 0x3b762de8, v75, v54 neg_lo:[0,0,1] neg_hi:[0,0,1]
	v_pk_mul_f16 v57, 0xb1e1b964, v79
	v_add_f16_e32 v35, v35, v0
	v_pk_add_f16 v29, v45, v28
	v_pk_mul_f16 v45, 0x3964b1e1, v81
	v_pk_add_f16 v28, v52, v30
	v_pk_fma_f16 v30, 0xbbdd39e9, v43, v57 neg_lo:[0,0,1] neg_hi:[0,0,1]
	v_pk_mul_f16 v0, 0xbacdb8d2, v47
	v_pk_mul_f16 v61, 0xbbb2ba62, v67
	;; [unrolled: 1-line block ×3, first 2 shown]
	v_bfi_b32 v40, 0xffff, v40, v42
	v_pk_add_f16 v28, v30, v28
	v_pk_fma_f16 v30, 0x39e9bbdd, v80, v45 neg_lo:[0,0,1] neg_hi:[0,0,1]
	v_bfi_b32 v0, 0xffff, v86, v0
	v_pk_mul_f16 v59, 0x2de83b76, v71
	v_bfi_b32 v39, 0xffff, v39, v49
	v_pk_mul_f16 v60, 0xb8d2bacd, v73
	v_pk_add_f16 v28, v30, v28
	v_pk_fma_f16 v30, 0xb461b8d2, v47, v61
	v_pk_mul_f16 v47, 0x38363bb2, v70
	v_pk_add_f16 v0, v0, v40
	v_bfi_b32 v40, 0xffff, v88, v52
	v_pk_mul_f16 v44, 0xbb29b836, v44
	v_pk_add_f16 v30, v68, v30
	v_pk_fma_f16 v46, 0xbacdb461, v46, v47
	v_pk_mul_f16 v47, 0x3964b5c8, v72
	v_pk_add_f16 v0, v68, v0
	v_pk_add_f16 v39, v40, v39
	v_bfi_b32 v40, 0xffff, v90, v59
	v_pk_add_f16 v30, v46, v30
	v_pk_fma_f16 v46, 0x39e93b76, v71, v47
	v_bfi_b32 v38, 0xffff, v38, v53
	v_mul_f16_e32 v55, 0xb8d2, v55
	v_pk_mul_f16 v63, 0x3b762de8, v75
	v_pk_fma_f16 v44, 0x3722bacd, v73, v44
	v_pk_add_f16 v30, v46, v30
	v_pk_mul_f16 v46, 0xb1e13bf7, v77
	v_pk_add_f16 v0, v39, v0
	v_pk_add_f16 v38, v40, v38
	v_bfi_b32 v39, 0xffff, v92, v60
	v_bfi_b32 v34, 0xffff, v37, v34
	v_mul_f16_e32 v56, 0x3722, v56
	v_pk_mul_f16 v64, 0xbbdd39e9, v43
	v_pk_add_f16 v30, v44, v30
	v_pk_fma_f16 v37, 0xbbdd2de8, v75, v46
	v_pk_mul_f16 v40, 0x3bf7b964, v79
	v_pk_add_f16 v0, v38, v0
	v_pk_add_f16 v34, v39, v34
	v_bfi_b32 v38, 0xffff, v55, v63
	v_bfi_b32 v31, 0xffff, v31, v54
	v_pk_mul_f16 v65, 0x39e9bbdd, v80
	v_pk_add_f16 v30, v37, v30
	v_pk_fma_f16 v37, 0x2de839e9, v43, v40
	v_pk_mul_f16 v39, 0xb5c8b1e1, v81
	v_pk_add_f16 v0, v34, v0
	v_pk_add_f16 v31, v38, v31
	v_bfi_b32 v34, 0xffff, v56, v64
	v_bfi_b32 v38, 0xffff, v58, v57
	v_pk_mul_f16 v42, 0xb4613722, v82
	v_pk_mul_f16 v40, 0xbbb23b29, v41
	v_pk_add_f16 v30, v37, v30
	v_pk_fma_f16 v37, 0x3b76bbdd, v80, v39
	v_pk_add_f16 v0, v31, v0
	v_pk_add_f16 v31, v34, v38
	v_bfi_b32 v34, 0xffff, v62, v65
	v_bfi_b32 v38, 0xffff, v50, v45
	v_mul_f16_e32 v39, 0x2de8, v2
	v_mul_f16_e32 v12, 0x3bf7, v12
	v_pk_mul_f16 v41, 0xba623b29, v41
	v_pk_add_f16 v0, v31, v0
	v_pk_add_f16 v31, v34, v38
	v_bfi_b32 v34, 0xffff, v39, v42
	v_bfi_b32 v38, 0xffff, v12, v40
	v_pk_add_f16 v30, v37, v30
	v_pk_fma_f16 v37, 0xb8d23722, v82, v41
	v_pk_add_f16 v0, v31, v0
	v_fma_f16 v2, v2, 0x2de8, -v12
	v_pk_add_f16 v31, v34, v38
	v_pk_fma_f16 v39, 0xb4613722, v82, v40 neg_lo:[0,0,1] neg_hi:[0,0,1]
	v_lshlrev_b32_e32 v12, 5, v8
	v_pk_add_f16 v34, v37, v30
	v_add_f16_e32 v2, v2, v33
	v_pk_add_f16 v0, v31, v0
	v_pk_add_f16 v30, v39, v28
	v_add3_u32 v12, v1, v12, v11
	v_alignbit_b32 v28, v27, v48, 16
	v_pack_b32_f16 v27, v36, v48
	v_alignbit_b32 v1, v34, v0, 16
	v_pack_b32_f16 v0, v2, v0
	v_alignbit_b32 v2, v35, v34, 16
	v_add_f16_e32 v31, v51, v32
	ds_store_b128 v12, v[27:30]
	ds_store_b128 v12, v[0:3] offset:16
	ds_store_b16 v12, v31 offset:32
.LBB0_16:
	s_wait_alu 0xfffe
	s_or_b32 exec_lo, exec_lo, s2
	global_wb scope:SCOPE_SE
	s_wait_dscnt 0x0
	s_barrier_signal -1
	s_barrier_wait -1
	global_inv scope:SCOPE_SE
	ds_load_u16 v37, v9
	ds_load_u16 v31, v10 offset:68
	ds_load_u16 v32, v10 offset:136
	ds_load_u16 v34, v10 offset:204
	ds_load_u16 v35, v10 offset:272
	ds_load_u16 v36, v10 offset:340
	ds_load_u16 v44, v10 offset:510
	ds_load_u16 v29, v10 offset:408
	ds_load_u16 v42, v10 offset:578
	ds_load_u16 v43, v10 offset:646
	ds_load_u16 v38, v10 offset:714
	ds_load_u16 v39, v10 offset:782
	ds_load_u16 v40, v10 offset:850
	ds_load_u16 v41, v10 offset:918
	s_and_saveexec_b32 s0, s1
	s_cbranch_execz .LBB0_18
; %bb.17:
	ds_load_u16 v3, v10 offset:476
	s_wait_dscnt 0x0
	ds_load_u16_d16_hi v3, v10 offset:986
.LBB0_18:
	s_wait_alu 0xfffe
	s_or_b32 exec_lo, exec_lo, s0
	v_dual_mov_b32 v47, 0 :: v_dual_add_nc_u32 v0, 0x44, v8
	v_add_nc_u32_e32 v1, 34, v8
	v_subrev_nc_u32_e32 v30, 17, v8
	v_add_nc_u32_e32 v2, 0x66, v8
	s_delay_alu instid0(VALU_DEP_4)
	v_and_b32_e32 v28, 0xff, v0
	v_add_nc_u32_e32 v12, 0xcc, v8
	v_and_b32_e32 v27, 0xff, v1
	v_add_nc_u32_e32 v45, 0xee, v8
	v_add_nc_u16 v50, v8, 0xaa
	v_mul_lo_u16 v28, 0xf1, v28
	v_cndmask_b32_e64 v46, v30, v8, s1
	v_mul_lo_u16 v33, 0xf1, v27
	v_add_nc_u16 v27, v8, 0x88
	v_and_b32_e32 v30, 0xff, v2
	v_lshrrev_b16 v57, 12, v28
	v_and_b32_e32 v51, 0xff, v50
	v_lshrrev_b16 v56, 12, v33
	v_and_b32_e32 v49, 0xff, v27
	v_and_b32_e32 v52, 0xff, v12
	v_mul_lo_u16 v48, v57, 17
	v_and_b32_e32 v53, 0xffff, v45
	v_mul_lo_u16 v33, v56, 17
	v_and_b32_e32 v56, 0xffff, v56
	v_and_b32_e32 v57, 0xffff, v57
	v_sub_nc_u16 v55, v0, v48
	v_lshlrev_b64_e32 v[47:48], 2, v[46:47]
	v_sub_nc_u16 v54, v1, v33
	v_mul_lo_u16 v33, 0xf1, v30
	v_mul_lo_u16 v30, 0xf1, v49
	;; [unrolled: 1-line block ×4, first 2 shown]
	v_mul_u32_u24_e32 v52, 0xf0f1, v53
	v_add_co_u32 v47, s0, s4, v47
	v_lshrrev_b16 v60, 12, v33
	s_wait_alu 0xf1ff
	v_add_co_ci_u32_e64 v48, s0, s5, v48, s0
	v_lshrrev_b16 v61, 12, v30
	v_lshrrev_b16 v62, 12, v49
	v_lshrrev_b32_e32 v49, 20, v52
	v_lshrrev_b16 v63, 12, v51
	v_mul_lo_u16 v51, v60, 17
	v_mul_lo_u16 v52, v61, 17
	;; [unrolled: 1-line block ×4, first 2 shown]
	global_load_b32 v49, v[47:48], off
	v_mul_lo_u16 v64, v63, 17
	v_sub_nc_u16 v47, v2, v51
	v_sub_nc_u16 v48, v27, v52
	v_sub_nc_u16 v50, v50, v53
	v_and_b32_e32 v58, 0xff, v54
	v_sub_nc_u16 v51, v12, v64
	v_sub_nc_u16 v45, v45, v65
	v_and_b32_e32 v59, 0xff, v55
	v_and_b32_e32 v64, 0xff, v47
	;; [unrolled: 1-line block ×5, first 2 shown]
	v_lshlrev_b32_e32 v54, 2, v58
	v_and_b32_e32 v68, 0xffff, v45
	v_lshlrev_b32_e32 v55, 2, v59
	v_lshlrev_b32_e32 v45, 2, v64
	;; [unrolled: 1-line block ×6, first 2 shown]
	s_clause 0x6
	global_load_b32 v54, v54, s[4:5]
	global_load_b32 v55, v55, s[4:5]
	;; [unrolled: 1-line block ×7, first 2 shown]
	v_cmp_lt_u32_e64 s0, 16, v8
	v_and_b32_e32 v62, 0xffff, v62
	v_lshlrev_b32_e32 v69, 1, v46
	v_and_b32_e32 v60, 0xffff, v60
	v_and_b32_e32 v61, 0xffff, v61
	s_wait_alu 0xf1ff
	v_cndmask_b32_e64 v47, 0, 0x44, s0
	v_mad_u32_u24 v71, 0x44, v62, 0
	v_lshlrev_b32_e32 v62, 1, v64
	v_and_b32_e32 v63, 0xffff, v63
	v_mad_u32_u24 v60, 0x44, v60, 0
	v_add_nc_u32_e32 v48, 0, v47
	v_mad_u32_u24 v70, 0x44, v61, 0
	v_lshlrev_b32_e32 v65, 1, v65
	v_lshlrev_b32_e32 v58, 1, v58
	;; [unrolled: 1-line block ×3, first 2 shown]
	v_add3_u32 v48, v48, v69, v11
	v_mad_u32_u24 v69, 0x44, v56, 0
	v_lshlrev_b32_e32 v56, 1, v68
	v_mad_u32_u24 v57, 0x44, v57, 0
	v_mad_u32_u24 v72, 0x44, v63, 0
	v_lshlrev_b32_e32 v59, 1, v59
	v_lshlrev_b32_e32 v67, 1, v67
	v_add3_u32 v62, v60, v62, v11
	v_add3_u32 v60, v70, v65, v11
	;; [unrolled: 1-line block ×6, first 2 shown]
	global_wb scope:SCOPE_SE
	s_wait_loadcnt_dscnt 0x0
	s_barrier_signal -1
	s_barrier_wait -1
	global_inv scope:SCOPE_SE
	v_lshrrev_b32_e32 v46, 16, v3
	v_lshrrev_b32_e32 v47, 16, v7
	;; [unrolled: 1-line block ×3, first 2 shown]
	s_delay_alu instid0(VALU_DEP_1) | instskip(NEXT) | instid1(VALU_DEP_1)
	v_mul_f16_e32 v68, v44, v64
	v_fmac_f16_e32 v68, v17, v49
	v_lshrrev_b32_e32 v70, 16, v54
	v_lshrrev_b32_e32 v69, 16, v55
	s_delay_alu instid0(VALU_DEP_3)
	v_sub_f16_e32 v71, v26, v68
	v_lshrrev_b32_e32 v68, 16, v50
	v_lshrrev_b32_e32 v67, 16, v51
	;; [unrolled: 1-line block ×4, first 2 shown]
	v_mul_f16_e32 v72, v42, v70
	v_mul_f16_e32 v73, v43, v69
	;; [unrolled: 1-line block ×3, first 2 shown]
	v_fma_f16 v26, v26, 2.0, -v71
	v_mul_f16_e32 v75, v39, v67
	v_mul_f16_e32 v76, v40, v66
	;; [unrolled: 1-line block ×3, first 2 shown]
	v_fmac_f16_e32 v72, v19, v54
	v_fmac_f16_e32 v73, v18, v55
	;; [unrolled: 1-line block ×3, first 2 shown]
	ds_store_b16 v48, v26
	ds_store_b16 v48, v71 offset:34
	v_fmac_f16_e32 v75, v15, v51
	v_fmac_f16_e32 v76, v14, v52
	;; [unrolled: 1-line block ×3, first 2 shown]
	v_sub_f16_e32 v26, v20, v72
	v_sub_f16_e32 v71, v21, v73
	;; [unrolled: 1-line block ×3, first 2 shown]
	v_lshrrev_b32_e32 v59, 16, v45
	v_sub_f16_e32 v73, v23, v75
	v_sub_f16_e32 v74, v24, v76
	;; [unrolled: 1-line block ×3, first 2 shown]
	v_fma_f16 v20, v20, 2.0, -v26
	v_fma_f16 v21, v21, 2.0, -v71
	;; [unrolled: 1-line block ×6, first 2 shown]
	ds_store_b16 v63, v20
	ds_store_b16 v63, v26 offset:34
	ds_store_b16 v61, v21
	ds_store_b16 v61, v71 offset:34
	;; [unrolled: 2-line block ×6, first 2 shown]
	s_and_saveexec_b32 s0, s1
	s_cbranch_execz .LBB0_20
; %bb.19:
	v_mul_f16_e32 v20, v46, v59
	v_add3_u32 v21, 0, v56, v11
	s_delay_alu instid0(VALU_DEP_2) | instskip(NEXT) | instid1(VALU_DEP_1)
	v_fmac_f16_e32 v20, v47, v45
	v_sub_f16_e32 v20, v7, v20
	s_delay_alu instid0(VALU_DEP_1)
	v_fma_f16 v7, v7, 2.0, -v20
	ds_store_b16 v21, v7 offset:952
	ds_store_b16 v21, v20 offset:986
.LBB0_20:
	s_wait_alu 0xfffe
	s_or_b32 exec_lo, exec_lo, s0
	v_mul_f16_e32 v7, v17, v64
	v_mul_f16_e32 v17, v19, v70
	;; [unrolled: 1-line block ×7, first 2 shown]
	v_fma_f16 v17, v42, v54, -v17
	v_fma_f16 v18, v43, v55, -v18
	;; [unrolled: 1-line block ×6, first 2 shown]
	v_sub_f16_e32 v38, v31, v17
	v_fma_f16 v7, v44, v49, -v7
	v_sub_f16_e32 v39, v32, v18
	v_sub_f16_e32 v40, v34, v16
	;; [unrolled: 1-line block ×4, first 2 shown]
	v_fma_f16 v43, v31, 2.0, -v38
	v_sub_f16_e32 v44, v29, v13
	global_wb scope:SCOPE_SE
	s_wait_dscnt 0x0
	s_barrier_signal -1
	s_barrier_wait -1
	global_inv scope:SCOPE_SE
	ds_load_u16 v24, v10 offset:408
	ds_load_u16 v18, v10 offset:476
	ds_load_u16 v17, v9
	ds_load_u16 v16, v10 offset:68
	ds_load_u16 v14, v10 offset:136
	;; [unrolled: 1-line block ×12, first 2 shown]
	v_sub_f16_e32 v7, v37, v7
	v_fma_f16 v32, v32, 2.0, -v39
	v_fma_f16 v34, v34, 2.0, -v40
	;; [unrolled: 1-line block ×6, first 2 shown]
	global_wb scope:SCOPE_SE
	s_wait_dscnt 0x0
	s_barrier_signal -1
	s_barrier_wait -1
	global_inv scope:SCOPE_SE
	ds_store_b16 v48, v37
	ds_store_b16 v48, v7 offset:34
	ds_store_b16 v63, v43
	ds_store_b16 v63, v38 offset:34
	;; [unrolled: 2-line block ×7, first 2 shown]
	s_and_saveexec_b32 s0, s1
	s_cbranch_execz .LBB0_22
; %bb.21:
	v_mul_f16_e32 v7, v47, v59
	v_add3_u32 v29, 0, v56, v11
	s_delay_alu instid0(VALU_DEP_2) | instskip(NEXT) | instid1(VALU_DEP_1)
	v_fma_f16 v7, v46, v45, -v7
	v_sub_f16_e32 v7, v3, v7
	s_delay_alu instid0(VALU_DEP_1)
	v_fma_f16 v3, v3, 2.0, -v7
	ds_store_b16 v29, v3 offset:952
	ds_store_b16 v29, v7 offset:986
.LBB0_22:
	s_wait_alu 0xfffe
	s_or_b32 exec_lo, exec_lo, s0
	v_mov_b32_e32 v7, 0
	v_lshrrev_b16 v3, 13, v28
	v_lshrrev_b16 v32, 13, v33
	global_wb scope:SCOPE_SE
	s_wait_dscnt 0x0
	s_barrier_signal -1
	v_lshlrev_b64_e32 v[28:29], 2, v[6:7]
	v_lshrrev_b16 v6, 13, v30
	v_mul_lo_u16 v3, v3, 34
	v_mul_lo_u16 v30, v32, 34
	s_barrier_wait -1
	global_inv scope:SCOPE_SE
	v_mul_lo_u16 v6, v6, 34
	v_sub_nc_u16 v3, v0, v3
	v_sub_nc_u16 v30, v2, v30
	v_add_co_u32 v28, s0, s4, v28
	s_delay_alu instid0(VALU_DEP_4)
	v_sub_nc_u16 v6, v27, v6
	s_wait_alu 0xf1ff
	v_add_co_ci_u32_e64 v29, s0, s5, v29, s0
	v_and_b32_e32 v3, 0xff, v3
	v_and_b32_e32 v27, 0xff, v30
	;; [unrolled: 1-line block ×3, first 2 shown]
	global_load_b64 v[28:29], v[28:29], off offset:68
	v_lshlrev_b32_e32 v30, 3, v3
	v_lshlrev_b32_e32 v34, 3, v27
	v_lshlrev_b32_e32 v36, 3, v6
	v_lshlrev_b32_e32 v3, 1, v3
	s_clause 0x2
	global_load_b64 v[32:33], v30, s[4:5] offset:68
	global_load_b64 v[34:35], v34, s[4:5] offset:68
	global_load_b64 v[36:37], v36, s[4:5] offset:68
	ds_load_u16 v30, v10 offset:408
	ds_load_u16 v38, v10 offset:476
	ds_load_u16 v39, v9
	ds_load_u16 v40, v10 offset:68
	ds_load_u16 v41, v10 offset:136
	;; [unrolled: 1-line block ×12, first 2 shown]
	v_lshlrev_b32_e32 v27, 1, v27
	v_lshlrev_b32_e32 v6, 1, v6
	v_add3_u32 v53, 0, v3, v11
	global_wb scope:SCOPE_SE
	s_wait_loadcnt_dscnt 0x0
	s_barrier_signal -1
	v_add3_u32 v27, 0, v27, v11
	v_add3_u32 v6, 0, v6, v11
	s_barrier_wait -1
	global_inv scope:SCOPE_SE
	v_lshrrev_b32_e32 v52, 16, v28
	v_lshrrev_b32_e32 v3, 16, v29
	s_delay_alu instid0(VALU_DEP_2) | instskip(SKIP_1) | instid1(VALU_DEP_3)
	v_mul_f16_e32 v11, v44, v52
	v_mul_f16_e32 v54, v26, v52
	;; [unrolled: 1-line block ×8, first 2 shown]
	v_lshrrev_b32_e32 v59, 16, v32
	v_lshrrev_b32_e32 v60, 16, v33
	;; [unrolled: 1-line block ×6, first 2 shown]
	v_fmac_f16_e32 v11, v26, v28
	v_fma_f16 v26, v44, v28, -v54
	v_fmac_f16_e32 v55, v31, v29
	v_fma_f16 v31, v46, v29, -v56
	;; [unrolled: 2-line block ×4, first 2 shown]
	v_mul_f16_e32 v25, v38, v59
	v_mul_f16_e32 v28, v18, v59
	;; [unrolled: 1-line block ×12, first 2 shown]
	v_sub_f16_e32 v67, v24, v3
	v_add_f16_e32 v68, v40, v24
	v_add_f16_e32 v24, v24, v3
	v_fmac_f16_e32 v25, v18, v32
	v_fmac_f16_e32 v29, v23, v33
	;; [unrolled: 1-line block ×6, first 2 shown]
	v_fma_f16 v18, v38, v32, -v28
	v_fma_f16 v23, v48, v33, -v30
	v_add_f16_e32 v62, v11, v55
	v_sub_f16_e32 v63, v26, v31
	v_add_f16_e32 v64, v39, v26
	v_add_f16_e32 v26, v26, v31
	;; [unrolled: 1-line block ×3, first 2 shown]
	v_fma_f16 v19, v43, v34, -v46
	v_fma_f16 v21, v49, v35, -v52
	;; [unrolled: 1-line block ×4, first 2 shown]
	v_fmac_f16_e32 v40, -0.5, v24
	v_add_f16_e32 v24, v25, v29
	v_add_f16_e32 v34, v13, v44
	;; [unrolled: 1-line block ×3, first 2 shown]
	v_sub_f16_e32 v38, v44, v47
	v_add_f16_e32 v44, v54, v59
	v_add_f16_e32 v61, v17, v11
	v_sub_f16_e32 v32, v18, v23
	v_add_f16_e32 v33, v41, v18
	v_add_f16_e32 v18, v18, v23
	v_fmac_f16_e32 v17, -0.5, v62
	v_add_f16_e32 v65, v16, v57
	v_sub_f16_e32 v11, v11, v55
	v_add_f16_e32 v30, v64, v31
	v_fmac_f16_e32 v39, -0.5, v26
	v_fmac_f16_e32 v16, -0.5, v66
	v_add_f16_e32 v31, v68, v3
	v_add_f16_e32 v3, v14, v25
	v_sub_f16_e32 v36, v19, v21
	v_add_f16_e32 v37, v42, v19
	v_add_f16_e32 v19, v19, v21
	;; [unrolled: 1-line block ×3, first 2 shown]
	v_sub_f16_e32 v46, v22, v20
	v_add_f16_e32 v48, v45, v22
	v_add_f16_e32 v22, v22, v20
	v_fmac_f16_e32 v14, -0.5, v24
	v_fmac_f16_e32 v13, -0.5, v35
	;; [unrolled: 1-line block ×3, first 2 shown]
	v_add_f16_e32 v28, v61, v55
	v_sub_f16_e32 v25, v25, v29
	v_fmac_f16_e32 v41, -0.5, v18
	v_fmamk_f16 v50, v63, 0xbaee, v17
	v_fmac_f16_e32 v17, 0x3aee, v63
	v_add_f16_e32 v26, v65, v58
	v_fmamk_f16 v51, v11, 0x3aee, v39
	v_fmac_f16_e32 v39, 0xbaee, v11
	v_fmamk_f16 v11, v67, 0xbaee, v16
	v_fmac_f16_e32 v16, 0x3aee, v67
	v_add_f16_e32 v3, v3, v29
	v_add_f16_e32 v29, v33, v23
	;; [unrolled: 1-line block ×4, first 2 shown]
	v_fmac_f16_e32 v42, -0.5, v19
	v_add_f16_e32 v19, v43, v59
	v_add_f16_e32 v34, v48, v20
	v_fmac_f16_e32 v45, -0.5, v22
	v_fmamk_f16 v20, v32, 0xbaee, v14
	v_fmac_f16_e32 v14, 0x3aee, v32
	v_fmamk_f16 v21, v36, 0xbaee, v13
	v_fmac_f16_e32 v13, 0x3aee, v36
	;; [unrolled: 2-line block ×4, first 2 shown]
	ds_store_b16 v10, v28
	ds_store_b16 v10, v50 offset:68
	ds_store_b16 v10, v17 offset:136
	ds_store_b16 v10, v26 offset:204
	ds_store_b16 v10, v11 offset:272
	ds_store_b16 v10, v16 offset:340
	ds_store_b16 v53, v3 offset:408
	ds_store_b16 v53, v20 offset:476
	ds_store_b16 v53, v14 offset:544
	ds_store_b16 v27, v18 offset:612
	ds_store_b16 v27, v21 offset:680
	ds_store_b16 v27, v13 offset:748
	ds_store_b16 v6, v19 offset:816
	ds_store_b16 v6, v22 offset:884
	ds_store_b16 v6, v15 offset:952
	global_wb scope:SCOPE_SE
	s_wait_dscnt 0x0
	s_barrier_signal -1
	s_barrier_wait -1
	global_inv scope:SCOPE_SE
	ds_load_u16 v3, v9
	ds_load_u16 v11, v10 offset:68
	ds_load_u16 v20, v10 offset:272
	;; [unrolled: 1-line block ×14, first 2 shown]
	v_sub_f16_e32 v57, v57, v58
	v_sub_f16_e32 v49, v54, v59
	v_fmamk_f16 v35, v38, 0x3aee, v42
	v_fmac_f16_e32 v42, 0xbaee, v38
	global_wb scope:SCOPE_SE
	s_wait_dscnt 0x0
	v_fmamk_f16 v52, v57, 0x3aee, v40
	v_fmac_f16_e32 v40, 0xbaee, v57
	v_fmamk_f16 v36, v49, 0x3aee, v45
	v_fmac_f16_e32 v45, 0xbaee, v49
	s_barrier_signal -1
	s_barrier_wait -1
	global_inv scope:SCOPE_SE
	ds_store_b16 v10, v30
	ds_store_b16 v10, v51 offset:68
	ds_store_b16 v10, v39 offset:136
	;; [unrolled: 1-line block ×14, first 2 shown]
	global_wb scope:SCOPE_SE
	s_wait_dscnt 0x0
	s_barrier_signal -1
	s_barrier_wait -1
	global_inv scope:SCOPE_SE
	s_and_saveexec_b32 s0, vcc_lo
	s_cbranch_execz .LBB0_24
; %bb.23:
	v_lshlrev_b32_e32 v6, 2, v0
	v_add_nc_u32_e32 v47, 0x132, v8
	v_mul_hi_u32 v44, 0xa0a0a0a1, v1
	v_mad_co_u64_u32 v[38:39], null, s8, v12, 0
	s_delay_alu instid0(VALU_DEP_4) | instskip(SKIP_4) | instid1(VALU_DEP_4)
	v_lshlrev_b64_e32 v[26:27], 2, v[6:7]
	v_lshlrev_b32_e32 v6, 2, v1
	v_mad_co_u64_u32 v[40:41], null, s8, v47, 0
	v_mul_hi_u32 v74, 0xa0a0a0a1, v0
	v_lshrrev_b32_e32 v49, 6, v44
	v_lshlrev_b64_e32 v[30:31], 2, v[6:7]
	v_lshlrev_b32_e32 v6, 2, v8
	v_add_co_u32 v26, vcc_lo, s4, v26
	s_wait_alu 0xfffd
	v_add_co_ci_u32_e32 v27, vcc_lo, s5, v27, vcc_lo
	s_delay_alu instid0(VALU_DEP_3)
	v_lshlrev_b64_e32 v[6:7], 2, v[6:7]
	v_add_co_u32 v30, vcc_lo, s4, v30
	global_load_b128 v[26:29], v[26:27], off offset:340
	s_wait_alu 0xfffd
	v_add_co_ci_u32_e32 v31, vcc_lo, s5, v31, vcc_lo
	v_add_co_u32 v6, vcc_lo, s4, v6
	s_wait_alu 0xfffd
	v_add_co_ci_u32_e32 v7, vcc_lo, s5, v7, vcc_lo
	global_load_b128 v[30:33], v[30:31], off offset:340
	v_add_co_u32 v4, vcc_lo, s10, v4
	global_load_b128 v[34:37], v[6:7], off offset:340
	ds_load_u16 v59, v10 offset:544
	ds_load_u16 v60, v10 offset:476
	;; [unrolled: 1-line block ×14, first 2 shown]
	ds_load_u16 v73, v9
	v_mad_co_u64_u32 v[9:10], null, s8, v2, 0
	v_mad_co_u64_u32 v[6:7], null, s8, v8, 0
	s_wait_alu 0xfffd
	v_add_co_ci_u32_e32 v5, vcc_lo, s11, v5, vcc_lo
	s_delay_alu instid0(VALU_DEP_3) | instskip(SKIP_3) | instid1(VALU_DEP_2)
	v_mad_co_u64_u32 v[44:45], null, s9, v2, v[10:11]
	v_mad_co_u64_u32 v[45:46], null, s9, v12, v[39:40]
	v_mad_u32_u24 v12, 0x198, v49, v1
	v_mov_b32_e32 v2, v41
	v_dual_mov_b32 v10, v44 :: v_dual_add_nc_u32 v57, 0x132, v12
	s_delay_alu instid0(VALU_DEP_2) | instskip(SKIP_1) | instid1(VALU_DEP_3)
	v_mad_co_u64_u32 v[1:2], null, s9, v47, v[2:3]
	v_dual_mov_b32 v39, v45 :: v_dual_add_nc_u32 v58, 0x198, v12
	v_mad_co_u64_u32 v[51:52], null, s8, v57, 0
	v_add_nc_u32_e32 v48, 0x198, v8
	v_mad_co_u64_u32 v[7:8], null, s9, v8, v[7:8]
	s_delay_alu instid0(VALU_DEP_4) | instskip(NEXT) | instid1(VALU_DEP_3)
	v_mad_co_u64_u32 v[53:54], null, s8, v58, 0
	v_mad_co_u64_u32 v[42:43], null, s8, v48, 0
	v_add_nc_u32_e32 v55, 0x66, v12
	v_mov_b32_e32 v41, v1
	v_lshlrev_b64_e32 v[1:2], 2, v[9:10]
	v_add_nc_u32_e32 v56, 0xcc, v12
	v_lshlrev_b64_e32 v[6:7], 2, v[6:7]
	v_mad_co_u64_u32 v[44:45], null, s8, v55, 0
	v_mov_b32_e32 v8, v43
	s_delay_alu instid0(VALU_DEP_3) | instskip(NEXT) | instid1(VALU_DEP_2)
	v_add_co_u32 v6, vcc_lo, v4, v6
	v_mad_co_u64_u32 v[46:47], null, s9, v48, v[8:9]
	v_mad_co_u64_u32 v[47:48], null, s8, v12, 0
	v_lshlrev_b64_e32 v[9:10], 2, v[38:39]
	v_lshlrev_b64_e32 v[38:39], 2, v[40:41]
	s_wait_alu 0xfffd
	v_add_co_ci_u32_e32 v7, vcc_lo, v5, v7, vcc_lo
	v_mov_b32_e32 v43, v46
	v_add_co_u32 v1, vcc_lo, v4, v1
	v_mov_b32_e32 v8, v48
	s_wait_alu 0xfffd
	v_add_co_ci_u32_e32 v2, vcc_lo, v5, v2, vcc_lo
	v_lshlrev_b64_e32 v[40:41], 2, v[42:43]
	s_delay_alu instid0(VALU_DEP_3) | instskip(SKIP_3) | instid1(VALU_DEP_4)
	v_mad_co_u64_u32 v[42:43], null, s9, v12, v[8:9]
	v_dual_mov_b32 v8, v45 :: v_dual_mov_b32 v45, v54
	v_mad_co_u64_u32 v[49:50], null, s8, v56, 0
	v_add_co_u32 v9, vcc_lo, v4, v9
	v_dual_mov_b32 v43, v52 :: v_dual_mov_b32 v48, v42
	s_wait_alu 0xfffd
	v_add_co_ci_u32_e32 v10, vcc_lo, v5, v10, vcc_lo
	s_delay_alu instid0(VALU_DEP_4) | instskip(SKIP_2) | instid1(VALU_DEP_3)
	v_mov_b32_e32 v12, v50
	v_mad_co_u64_u32 v[54:55], null, s9, v55, v[8:9]
	v_add_co_u32 v38, vcc_lo, v4, v38
	v_mad_co_u64_u32 v[55:56], null, s9, v56, v[12:13]
	v_mad_co_u64_u32 v[56:57], null, s9, v57, v[43:44]
	;; [unrolled: 1-line block ×3, first 2 shown]
	v_lshlrev_b64_e32 v[42:43], 2, v[47:48]
	s_delay_alu instid0(VALU_DEP_4)
	v_dual_mov_b32 v45, v54 :: v_dual_mov_b32 v50, v55
	s_wait_alu 0xfffd
	v_add_co_ci_u32_e32 v39, vcc_lo, v5, v39, vcc_lo
	v_mov_b32_e32 v52, v56
	v_add_co_u32 v40, vcc_lo, v4, v40
	v_lshlrev_b64_e32 v[46:47], 2, v[49:50]
	v_lshlrev_b64_e32 v[44:45], 2, v[44:45]
	s_delay_alu instid0(VALU_DEP_4)
	v_lshlrev_b64_e32 v[48:49], 2, v[51:52]
	s_wait_alu 0xfffd
	v_add_co_ci_u32_e32 v41, vcc_lo, v5, v41, vcc_lo
	v_add_co_u32 v42, vcc_lo, v4, v42
	s_wait_alu 0xfffd
	v_add_co_ci_u32_e32 v43, vcc_lo, v5, v43, vcc_lo
	v_add_co_u32 v44, vcc_lo, v4, v44
	;; [unrolled: 3-line block ×3, first 2 shown]
	s_wait_alu 0xfffd
	v_add_co_ci_u32_e32 v47, vcc_lo, v5, v47, vcc_lo
	s_wait_loadcnt 0x2
	v_lshrrev_b32_e32 v8, 16, v26
	v_lshrrev_b32_e32 v12, 16, v27
	;; [unrolled: 1-line block ×4, first 2 shown]
	s_delay_alu instid0(VALU_DEP_4) | instskip(NEXT) | instid1(VALU_DEP_4)
	v_mul_f16_e32 v52, v22, v8
	v_mul_f16_e32 v54, v25, v12
	s_delay_alu instid0(VALU_DEP_4) | instskip(NEXT) | instid1(VALU_DEP_4)
	v_mul_f16_e32 v56, v23, v50
	v_mul_f16_e32 v55, v24, v51
	s_wait_dscnt 0xb
	v_mul_f16_e32 v8, v62, v8
	s_wait_dscnt 0x8
	v_mul_f16_e32 v51, v65, v51
	v_mul_f16_e32 v12, v59, v12
	s_wait_dscnt 0x5
	v_mul_f16_e32 v50, v68, v50
	s_wait_loadcnt 0x1
	v_lshrrev_b32_e32 v58, 16, v30
	v_lshrrev_b32_e32 v75, 16, v31
	v_lshrrev_b32_e32 v76, 16, v32
	v_lshrrev_b32_e32 v77, 16, v33
	v_fma_f16 v52, v62, v26, -v52
	v_fma_f16 v54, v59, v27, -v54
	;; [unrolled: 1-line block ×4, first 2 shown]
	v_fmac_f16_e32 v8, v22, v26
	v_fmac_f16_e32 v51, v24, v29
	;; [unrolled: 1-line block ×4, first 2 shown]
	v_mul_f16_e32 v22, v20, v58
	v_mul_f16_e32 v23, v18, v75
	;; [unrolled: 1-line block ×7, first 2 shown]
	s_wait_dscnt 0x4
	v_mul_f16_e32 v29, v69, v76
	s_wait_loadcnt 0x0
	v_lshrrev_b32_e32 v58, 16, v34
	v_lshrrev_b32_e32 v59, 16, v35
	;; [unrolled: 1-line block ×4, first 2 shown]
	v_sub_f16_e32 v68, v52, v54
	v_sub_f16_e32 v75, v55, v56
	;; [unrolled: 1-line block ×5, first 2 shown]
	v_add_f16_e32 v81, v12, v50
	v_sub_f16_e32 v82, v52, v55
	v_sub_f16_e32 v84, v54, v52
	;; [unrolled: 1-line block ×3, first 2 shown]
	v_add_f16_e32 v86, v52, v55
	v_sub_f16_e32 v87, v12, v8
	v_sub_f16_e32 v88, v50, v51
	v_add_f16_e32 v89, v8, v51
	s_wait_dscnt 0x2
	v_add_f16_e32 v52, v52, v71
	v_add_f16_e32 v8, v17, v8
	v_fma_f16 v22, v63, v30, -v22
	v_fma_f16 v23, v60, v31, -v23
	;; [unrolled: 1-line block ×4, first 2 shown]
	v_fmac_f16_e32 v26, v20, v30
	v_fmac_f16_e32 v27, v21, v33
	;; [unrolled: 1-line block ×4, first 2 shown]
	v_mul_f16_e32 v18, v14, v58
	v_mul_f16_e32 v19, v13, v59
	;; [unrolled: 1-line block ×8, first 2 shown]
	v_add_f16_e32 v76, v54, v56
	v_sub_f16_e32 v78, v12, v50
	v_add_f16_e32 v58, v68, v75
	v_add_f16_e32 v60, v79, v80
	v_fma_f16 v62, -0.5, v81, v17
	v_add_f16_e32 v63, v84, v85
	v_fma_f16 v65, -0.5, v86, v71
	;; [unrolled: 2-line block ×3, first 2 shown]
	v_add_f16_e32 v52, v54, v52
	v_add_f16_e32 v8, v8, v12
	v_sub_f16_e32 v12, v22, v23
	v_sub_f16_e32 v69, v26, v27
	v_sub_f16_e32 v75, v26, v28
	v_sub_f16_e32 v80, v22, v24
	v_sub_f16_e32 v84, v23, v22
	v_add_f16_e32 v86, v22, v24
	v_sub_f16_e32 v87, v28, v26
	v_add_f16_e32 v89, v26, v27
	s_wait_dscnt 0x1
	v_add_f16_e32 v22, v22, v72
	v_add_f16_e32 v26, v11, v26
	v_fma_f16 v18, v64, v34, -v18
	v_fma_f16 v19, v61, v35, -v19
	;; [unrolled: 1-line block ×4, first 2 shown]
	v_fmac_f16_e32 v32, v13, v35
	v_fmac_f16_e32 v33, v15, v36
	v_sub_f16_e32 v83, v54, v56
	v_sub_f16_e32 v54, v24, v25
	v_add_f16_e32 v68, v23, v25
	v_sub_f16_e32 v85, v25, v24
	v_sub_f16_e32 v88, v29, v27
	v_fmac_f16_e32 v30, v14, v34
	v_fmac_f16_e32 v31, v16, v37
	v_fma_f16 v59, -0.5, v76, v71
	v_sub_f16_e32 v76, v27, v29
	v_add_f16_e32 v79, v28, v29
	v_sub_f16_e32 v71, v28, v29
	v_sub_f16_e32 v81, v23, v25
	v_add_f16_e32 v13, v56, v52
	v_add_f16_e32 v22, v23, v22
	;; [unrolled: 1-line block ×3, first 2 shown]
	v_sub_f16_e32 v26, v18, v19
	v_sub_f16_e32 v28, v20, v21
	v_add_f16_e32 v56, v19, v21
	v_add_f16_e32 v70, v32, v33
	;; [unrolled: 1-line block ×4, first 2 shown]
	v_fma_f16 v14, -0.5, v68, v72
	v_add_f16_e32 v50, v84, v85
	v_add_f16_e32 v54, v87, v88
	v_sub_f16_e32 v67, v30, v32
	v_sub_f16_e32 v68, v31, v33
	v_add_f16_e32 v84, v18, v20
	v_add_f16_e32 v87, v30, v31
	v_fmamk_f16 v35, v78, 0x3b9c, v65
	v_fmac_f16_e32 v65, 0xbb9c, v78
	v_add_f16_e32 v15, v75, v76
	v_fma_f16 v37, -0.5, v79, v11
	v_fma_f16 v52, -0.5, v86, v72
	v_sub_f16_e32 v61, v30, v31
	v_sub_f16_e32 v72, v18, v20
	;; [unrolled: 1-line block ×4, first 2 shown]
	s_wait_dscnt 0x0
	v_add_f16_e32 v18, v18, v73
	v_add_f16_e32 v30, v3, v30
	;; [unrolled: 1-line block ×5, first 2 shown]
	v_fma_f16 v26, -0.5, v56, v73
	v_fma_f16 v29, -0.5, v70, v3
	v_sub_f16_e32 v64, v32, v33
	v_sub_f16_e32 v75, v19, v21
	v_add_f16_e32 v28, v67, v68
	v_fma_f16 v67, -0.5, v84, v73
	v_fma_f16 v3, -0.5, v87, v3
	v_fmamk_f16 v16, v77, 0xbb9c, v59
	v_fmac_f16_e32 v59, 0x3b9c, v77
	v_fmac_f16_e32 v35, 0xb8b4, v77
	;; [unrolled: 1-line block ×3, first 2 shown]
	v_add_f16_e32 v55, v55, v13
	v_fmamk_f16 v13, v69, 0xbb9c, v14
	v_fmamk_f16 v77, v80, 0x3b9c, v37
	v_fmac_f16_e32 v14, 0x3b9c, v69
	v_fmac_f16_e32 v37, 0xbb9c, v80
	v_add_f16_e32 v18, v19, v18
	v_add_f16_e32 v19, v30, v32
	;; [unrolled: 1-line block ×4, first 2 shown]
	v_fmamk_f16 v24, v61, 0xbb9c, v26
	v_fmamk_f16 v27, v72, 0x3b9c, v29
	v_fmac_f16_e32 v26, 0x3b9c, v61
	v_fmac_f16_e32 v29, 0xbb9c, v72
	v_sub_f16_e32 v79, v21, v20
	v_sub_f16_e32 v86, v33, v31
	v_fmamk_f16 v30, v64, 0x3b9c, v67
	v_fmamk_f16 v32, v75, 0xbb9c, v3
	v_fmac_f16_e32 v67, 0xbb9c, v64
	v_fmac_f16_e32 v3, 0x3b9c, v75
	;; [unrolled: 1-line block ×6, first 2 shown]
	v_add_f16_e32 v18, v21, v18
	v_add_f16_e32 v19, v19, v33
	v_fma_f16 v11, -0.5, v89, v11
	v_fmac_f16_e32 v26, 0x38b4, v64
	v_fmac_f16_e32 v29, 0xb8b4, v75
	v_add_f16_e32 v56, v76, v79
	v_add_f16_e32 v68, v85, v86
	v_fmac_f16_e32 v67, 0x38b4, v61
	v_fmac_f16_e32 v3, 0xb8b4, v72
	;; [unrolled: 1-line block ×10, first 2 shown]
	v_add_f16_e32 v12, v20, v18
	v_add_f16_e32 v15, v31, v19
	v_fmac_f16_e32 v16, 0xb8b4, v78
	v_fmac_f16_e32 v59, 0x38b4, v78
	v_add_f16_e32 v51, v51, v8
	v_fmamk_f16 v8, v71, 0x3b9c, v52
	v_fmamk_f16 v78, v81, 0xbb9c, v11
	v_fmac_f16_e32 v52, 0xbb9c, v71
	v_fmac_f16_e32 v11, 0x3b9c, v81
	v_fmac_f16_e32 v26, 0x34f2, v25
	v_fmac_f16_e32 v29, 0x34f2, v28
	v_fmac_f16_e32 v67, 0x34f2, v56
	v_fmac_f16_e32 v3, 0x34f2, v68
	v_fmac_f16_e32 v30, 0x34f2, v56
	v_fmac_f16_e32 v32, 0x34f2, v68
	v_fmac_f16_e32 v24, 0x34f2, v25
	v_fmac_f16_e32 v27, 0x34f2, v28
	v_pack_b32_f16 v12, v15, v12
	v_fmac_f16_e32 v52, 0x38b4, v69
	v_fmac_f16_e32 v11, 0xb8b4, v80
	v_pack_b32_f16 v15, v29, v26
	v_fmac_f16_e32 v8, 0xb8b4, v69
	v_fmac_f16_e32 v78, 0x38b4, v80
	v_pack_b32_f16 v3, v3, v67
	v_pack_b32_f16 v19, v32, v30
	;; [unrolled: 1-line block ×4, first 2 shown]
	s_clause 0x5
	global_store_b32 v[6:7], v12, off
	global_store_b32 v[1:2], v15, off
	;; [unrolled: 1-line block ×6, first 2 shown]
	v_lshrrev_b32_e32 v3, 6, v74
	v_fmac_f16_e32 v52, 0x34f2, v50
	v_fmac_f16_e32 v11, 0x34f2, v54
	;; [unrolled: 1-line block ×4, first 2 shown]
	v_pack_b32_f16 v14, v37, v14
	v_add_co_u32 v1, vcc_lo, v4, v48
	v_mad_u32_u24 v15, 0x198, v3, v0
	v_pack_b32_f16 v11, v11, v52
	s_wait_alu 0xfffd
	v_add_co_ci_u32_e32 v2, vcc_lo, v5, v49, vcc_lo
	v_pack_b32_f16 v6, v78, v8
	s_clause 0x2
	global_store_b32 v[44:45], v14, off
	global_store_b32 v[46:47], v11, off
	;; [unrolled: 1-line block ×3, first 2 shown]
	v_add_nc_u32_e32 v12, 0x66, v15
	v_add_nc_u32_e32 v14, 0xcc, v15
	v_mad_co_u64_u32 v[2:3], null, s8, v15, 0
	v_mov_b32_e32 v54, v57
	s_delay_alu instid0(VALU_DEP_4) | instskip(NEXT) | instid1(VALU_DEP_4)
	v_mad_co_u64_u32 v[6:7], null, s8, v12, 0
	v_mad_co_u64_u32 v[8:9], null, s8, v14, 0
	s_delay_alu instid0(VALU_DEP_3)
	v_lshlrev_b64_e32 v[0:1], 2, v[53:54]
	v_mad_co_u64_u32 v[10:11], null, s9, v15, v[3:4]
	v_add_nc_u32_e32 v19, 0x132, v15
	v_pack_b32_f16 v18, v77, v13
	v_fmamk_f16 v34, v82, 0x3b9c, v62
	v_mad_co_u64_u32 v[11:12], null, s9, v12, v[7:8]
	v_mov_b32_e32 v7, v9
	v_mad_co_u64_u32 v[12:13], null, s8, v19, 0
	v_add_co_u32 v0, vcc_lo, v4, v0
	v_mov_b32_e32 v3, v10
	s_delay_alu instid0(VALU_DEP_4)
	v_mad_co_u64_u32 v[9:10], null, s9, v14, v[7:8]
	v_add_nc_u32_e32 v14, 0x198, v15
	s_wait_alu 0xfffd
	v_add_co_ci_u32_e32 v1, vcc_lo, v5, v1, vcc_lo
	v_mov_b32_e32 v7, v11
	v_fmac_f16_e32 v62, 0xbb9c, v82
	v_mad_co_u64_u32 v[10:11], null, s8, v14, 0
	global_store_b32 v[0:1], v18, off
	v_lshlrev_b64_e32 v[0:1], 2, v[2:3]
	v_mov_b32_e32 v2, v13
	v_lshlrev_b64_e32 v[6:7], 2, v[6:7]
	v_fmamk_f16 v36, v83, 0xbb9c, v17
	v_fmac_f16_e32 v17, 0x3b9c, v83
	v_lshlrev_b64_e32 v[8:9], 2, v[8:9]
	v_mad_co_u64_u32 v[2:3], null, s9, v19, v[2:3]
	v_mov_b32_e32 v3, v11
	v_add_co_u32 v0, vcc_lo, v4, v0
	s_wait_alu 0xfffd
	v_add_co_ci_u32_e32 v1, vcc_lo, v5, v1, vcc_lo
	s_delay_alu instid0(VALU_DEP_3)
	v_mad_co_u64_u32 v[14:15], null, s9, v14, v[3:4]
	v_mov_b32_e32 v13, v2
	v_fmac_f16_e32 v62, 0xb8b4, v83
	v_add_co_u32 v2, vcc_lo, v4, v6
	v_fmac_f16_e32 v17, 0xb8b4, v82
	v_fmac_f16_e32 v36, 0x38b4, v82
	v_mov_b32_e32 v11, v14
	s_wait_alu 0xfffd
	v_add_co_ci_u32_e32 v3, vcc_lo, v5, v7, vcc_lo
	v_lshlrev_b64_e32 v[6:7], 2, v[12:13]
	v_fmac_f16_e32 v34, 0x38b4, v83
	v_fmac_f16_e32 v59, 0x34f2, v58
	v_fmac_f16_e32 v62, 0x34f2, v60
	v_add_co_u32 v8, vcc_lo, v4, v8
	v_lshlrev_b64_e32 v[10:11], 2, v[10:11]
	v_fmac_f16_e32 v65, 0x34f2, v63
	v_fmac_f16_e32 v17, 0x34f2, v66
	;; [unrolled: 1-line block ×4, first 2 shown]
	s_wait_alu 0xfffd
	v_add_co_ci_u32_e32 v9, vcc_lo, v5, v9, vcc_lo
	v_fmac_f16_e32 v16, 0x34f2, v58
	v_fmac_f16_e32 v34, 0x34f2, v60
	v_add_co_u32 v6, vcc_lo, v4, v6
	v_pack_b32_f16 v18, v51, v55
	v_pack_b32_f16 v15, v62, v59
	s_wait_alu 0xfffd
	v_add_co_ci_u32_e32 v7, vcc_lo, v5, v7, vcc_lo
	v_pack_b32_f16 v12, v17, v65
	v_add_co_u32 v4, vcc_lo, v4, v10
	v_pack_b32_f16 v13, v36, v35
	s_wait_alu 0xfffd
	v_add_co_ci_u32_e32 v5, vcc_lo, v5, v11, vcc_lo
	v_pack_b32_f16 v10, v34, v16
	s_clause 0x4
	global_store_b32 v[0:1], v18, off
	global_store_b32 v[2:3], v15, off
	;; [unrolled: 1-line block ×5, first 2 shown]
.LBB0_24:
	s_nop 0
	s_sendmsg sendmsg(MSG_DEALLOC_VGPRS)
	s_endpgm
	.section	.rodata,"a",@progbits
	.p2align	6, 0x0
	.amdhsa_kernel fft_rtc_back_len510_factors_17_2_3_5_wgs_238_tpt_34_halfLds_half_ip_CI_sbrr_dirReg
		.amdhsa_group_segment_fixed_size 0
		.amdhsa_private_segment_fixed_size 0
		.amdhsa_kernarg_size 88
		.amdhsa_user_sgpr_count 2
		.amdhsa_user_sgpr_dispatch_ptr 0
		.amdhsa_user_sgpr_queue_ptr 0
		.amdhsa_user_sgpr_kernarg_segment_ptr 1
		.amdhsa_user_sgpr_dispatch_id 0
		.amdhsa_user_sgpr_private_segment_size 0
		.amdhsa_wavefront_size32 1
		.amdhsa_uses_dynamic_stack 0
		.amdhsa_enable_private_segment 0
		.amdhsa_system_sgpr_workgroup_id_x 1
		.amdhsa_system_sgpr_workgroup_id_y 0
		.amdhsa_system_sgpr_workgroup_id_z 0
		.amdhsa_system_sgpr_workgroup_info 0
		.amdhsa_system_vgpr_workitem_id 0
		.amdhsa_next_free_vgpr 106
		.amdhsa_next_free_sgpr 35
		.amdhsa_reserve_vcc 1
		.amdhsa_float_round_mode_32 0
		.amdhsa_float_round_mode_16_64 0
		.amdhsa_float_denorm_mode_32 3
		.amdhsa_float_denorm_mode_16_64 3
		.amdhsa_fp16_overflow 0
		.amdhsa_workgroup_processor_mode 1
		.amdhsa_memory_ordered 1
		.amdhsa_forward_progress 0
		.amdhsa_round_robin_scheduling 0
		.amdhsa_exception_fp_ieee_invalid_op 0
		.amdhsa_exception_fp_denorm_src 0
		.amdhsa_exception_fp_ieee_div_zero 0
		.amdhsa_exception_fp_ieee_overflow 0
		.amdhsa_exception_fp_ieee_underflow 0
		.amdhsa_exception_fp_ieee_inexact 0
		.amdhsa_exception_int_div_zero 0
	.end_amdhsa_kernel
	.text
.Lfunc_end0:
	.size	fft_rtc_back_len510_factors_17_2_3_5_wgs_238_tpt_34_halfLds_half_ip_CI_sbrr_dirReg, .Lfunc_end0-fft_rtc_back_len510_factors_17_2_3_5_wgs_238_tpt_34_halfLds_half_ip_CI_sbrr_dirReg
                                        ; -- End function
	.section	.AMDGPU.csdata,"",@progbits
; Kernel info:
; codeLenInByte = 14552
; NumSgprs: 37
; NumVgprs: 106
; ScratchSize: 0
; MemoryBound: 0
; FloatMode: 240
; IeeeMode: 1
; LDSByteSize: 0 bytes/workgroup (compile time only)
; SGPRBlocks: 4
; VGPRBlocks: 13
; NumSGPRsForWavesPerEU: 37
; NumVGPRsForWavesPerEU: 106
; Occupancy: 12
; WaveLimiterHint : 1
; COMPUTE_PGM_RSRC2:SCRATCH_EN: 0
; COMPUTE_PGM_RSRC2:USER_SGPR: 2
; COMPUTE_PGM_RSRC2:TRAP_HANDLER: 0
; COMPUTE_PGM_RSRC2:TGID_X_EN: 1
; COMPUTE_PGM_RSRC2:TGID_Y_EN: 0
; COMPUTE_PGM_RSRC2:TGID_Z_EN: 0
; COMPUTE_PGM_RSRC2:TIDIG_COMP_CNT: 0
	.text
	.p2alignl 7, 3214868480
	.fill 96, 4, 3214868480
	.type	__hip_cuid_44ac0d3cae5595b8,@object ; @__hip_cuid_44ac0d3cae5595b8
	.section	.bss,"aw",@nobits
	.globl	__hip_cuid_44ac0d3cae5595b8
__hip_cuid_44ac0d3cae5595b8:
	.byte	0                               ; 0x0
	.size	__hip_cuid_44ac0d3cae5595b8, 1

	.ident	"AMD clang version 19.0.0git (https://github.com/RadeonOpenCompute/llvm-project roc-6.4.0 25133 c7fe45cf4b819c5991fe208aaa96edf142730f1d)"
	.section	".note.GNU-stack","",@progbits
	.addrsig
	.addrsig_sym __hip_cuid_44ac0d3cae5595b8
	.amdgpu_metadata
---
amdhsa.kernels:
  - .args:
      - .actual_access:  read_only
        .address_space:  global
        .offset:         0
        .size:           8
        .value_kind:     global_buffer
      - .offset:         8
        .size:           8
        .value_kind:     by_value
      - .actual_access:  read_only
        .address_space:  global
        .offset:         16
        .size:           8
        .value_kind:     global_buffer
      - .actual_access:  read_only
        .address_space:  global
        .offset:         24
        .size:           8
        .value_kind:     global_buffer
      - .offset:         32
        .size:           8
        .value_kind:     by_value
      - .actual_access:  read_only
        .address_space:  global
        .offset:         40
        .size:           8
        .value_kind:     global_buffer
      - .actual_access:  read_only
        .address_space:  global
        .offset:         48
        .size:           8
        .value_kind:     global_buffer
      - .offset:         56
        .size:           4
        .value_kind:     by_value
      - .actual_access:  read_only
        .address_space:  global
        .offset:         64
        .size:           8
        .value_kind:     global_buffer
      - .actual_access:  read_only
        .address_space:  global
        .offset:         72
        .size:           8
        .value_kind:     global_buffer
      - .address_space:  global
        .offset:         80
        .size:           8
        .value_kind:     global_buffer
    .group_segment_fixed_size: 0
    .kernarg_segment_align: 8
    .kernarg_segment_size: 88
    .language:       OpenCL C
    .language_version:
      - 2
      - 0
    .max_flat_workgroup_size: 238
    .name:           fft_rtc_back_len510_factors_17_2_3_5_wgs_238_tpt_34_halfLds_half_ip_CI_sbrr_dirReg
    .private_segment_fixed_size: 0
    .sgpr_count:     37
    .sgpr_spill_count: 0
    .symbol:         fft_rtc_back_len510_factors_17_2_3_5_wgs_238_tpt_34_halfLds_half_ip_CI_sbrr_dirReg.kd
    .uniform_work_group_size: 1
    .uses_dynamic_stack: false
    .vgpr_count:     106
    .vgpr_spill_count: 0
    .wavefront_size: 32
    .workgroup_processor_mode: 1
amdhsa.target:   amdgcn-amd-amdhsa--gfx1201
amdhsa.version:
  - 1
  - 2
...

	.end_amdgpu_metadata
